;; amdgpu-corpus repo=ROCm/rocFFT kind=compiled arch=gfx1201 opt=O3
	.text
	.amdgcn_target "amdgcn-amd-amdhsa--gfx1201"
	.amdhsa_code_object_version 6
	.protected	fft_rtc_back_len1768_factors_17_13_8_wgs_136_tpt_136_halfLds_half_op_CI_CI_unitstride_sbrr_R2C_dirReg ; -- Begin function fft_rtc_back_len1768_factors_17_13_8_wgs_136_tpt_136_halfLds_half_op_CI_CI_unitstride_sbrr_R2C_dirReg
	.globl	fft_rtc_back_len1768_factors_17_13_8_wgs_136_tpt_136_halfLds_half_op_CI_CI_unitstride_sbrr_R2C_dirReg
	.p2align	8
	.type	fft_rtc_back_len1768_factors_17_13_8_wgs_136_tpt_136_halfLds_half_op_CI_CI_unitstride_sbrr_R2C_dirReg,@function
fft_rtc_back_len1768_factors_17_13_8_wgs_136_tpt_136_halfLds_half_op_CI_CI_unitstride_sbrr_R2C_dirReg: ; @fft_rtc_back_len1768_factors_17_13_8_wgs_136_tpt_136_halfLds_half_op_CI_CI_unitstride_sbrr_R2C_dirReg
; %bb.0:
	s_clause 0x2
	s_load_b128 s[8:11], s[0:1], 0x0
	s_load_b128 s[4:7], s[0:1], 0x58
	;; [unrolled: 1-line block ×3, first 2 shown]
	v_mul_u32_u24_e32 v1, 0x1e2, v0
	v_mov_b32_e32 v3, 0
	v_mov_b32_e32 v7, 0
	;; [unrolled: 1-line block ×3, first 2 shown]
	s_delay_alu instid0(VALU_DEP_4) | instskip(NEXT) | instid1(VALU_DEP_1)
	v_lshrrev_b32_e32 v1, 16, v1
	v_dual_mov_b32 v10, v3 :: v_dual_add_nc_u32 v9, ttmp9, v1
	s_wait_kmcnt 0x0
	v_cmp_lt_u64_e64 s2, s[10:11], 2
	s_delay_alu instid0(VALU_DEP_1)
	s_and_b32 vcc_lo, exec_lo, s2
	s_cbranch_vccnz .LBB0_8
; %bb.1:
	s_load_b64 s[2:3], s[0:1], 0x10
	v_mov_b32_e32 v7, 0
	v_mov_b32_e32 v8, 0
	s_delay_alu instid0(VALU_DEP_2)
	v_mov_b32_e32 v1, v7
	s_add_nc_u64 s[16:17], s[14:15], 8
	s_add_nc_u64 s[18:19], s[12:13], 8
	s_mov_b64 s[20:21], 1
	v_mov_b32_e32 v2, v8
	s_wait_kmcnt 0x0
	s_add_nc_u64 s[22:23], s[2:3], 8
	s_mov_b32 s3, 0
.LBB0_2:                                ; =>This Inner Loop Header: Depth=1
	s_load_b64 s[24:25], s[22:23], 0x0
                                        ; implicit-def: $vgpr5_vgpr6
	s_mov_b32 s2, exec_lo
	s_wait_kmcnt 0x0
	v_or_b32_e32 v4, s25, v10
	s_delay_alu instid0(VALU_DEP_1)
	v_cmpx_ne_u64_e32 0, v[3:4]
	s_wait_alu 0xfffe
	s_xor_b32 s26, exec_lo, s2
	s_cbranch_execz .LBB0_4
; %bb.3:                                ;   in Loop: Header=BB0_2 Depth=1
	s_cvt_f32_u32 s2, s24
	s_cvt_f32_u32 s27, s25
	s_sub_nc_u64 s[30:31], 0, s[24:25]
	s_wait_alu 0xfffe
	s_delay_alu instid0(SALU_CYCLE_1) | instskip(SKIP_1) | instid1(SALU_CYCLE_2)
	s_fmamk_f32 s2, s27, 0x4f800000, s2
	s_wait_alu 0xfffe
	v_s_rcp_f32 s2, s2
	s_delay_alu instid0(TRANS32_DEP_1) | instskip(SKIP_1) | instid1(SALU_CYCLE_2)
	s_mul_f32 s2, s2, 0x5f7ffffc
	s_wait_alu 0xfffe
	s_mul_f32 s27, s2, 0x2f800000
	s_wait_alu 0xfffe
	s_delay_alu instid0(SALU_CYCLE_2) | instskip(SKIP_1) | instid1(SALU_CYCLE_2)
	s_trunc_f32 s27, s27
	s_wait_alu 0xfffe
	s_fmamk_f32 s2, s27, 0xcf800000, s2
	s_cvt_u32_f32 s29, s27
	s_wait_alu 0xfffe
	s_delay_alu instid0(SALU_CYCLE_1) | instskip(SKIP_1) | instid1(SALU_CYCLE_2)
	s_cvt_u32_f32 s28, s2
	s_wait_alu 0xfffe
	s_mul_u64 s[34:35], s[30:31], s[28:29]
	s_wait_alu 0xfffe
	s_mul_hi_u32 s37, s28, s35
	s_mul_i32 s36, s28, s35
	s_mul_hi_u32 s2, s28, s34
	s_mul_i32 s33, s29, s34
	s_wait_alu 0xfffe
	s_add_nc_u64 s[36:37], s[2:3], s[36:37]
	s_mul_hi_u32 s27, s29, s34
	s_mul_hi_u32 s38, s29, s35
	s_add_co_u32 s2, s36, s33
	s_wait_alu 0xfffe
	s_add_co_ci_u32 s2, s37, s27
	s_mul_i32 s34, s29, s35
	s_add_co_ci_u32 s35, s38, 0
	s_wait_alu 0xfffe
	s_add_nc_u64 s[34:35], s[2:3], s[34:35]
	s_wait_alu 0xfffe
	v_add_co_u32 v4, s2, s28, s34
	s_delay_alu instid0(VALU_DEP_1) | instskip(SKIP_1) | instid1(VALU_DEP_1)
	s_cmp_lg_u32 s2, 0
	s_add_co_ci_u32 s29, s29, s35
	v_readfirstlane_b32 s28, v4
	s_wait_alu 0xfffe
	s_delay_alu instid0(VALU_DEP_1)
	s_mul_u64 s[30:31], s[30:31], s[28:29]
	s_wait_alu 0xfffe
	s_mul_hi_u32 s35, s28, s31
	s_mul_i32 s34, s28, s31
	s_mul_hi_u32 s2, s28, s30
	s_mul_i32 s33, s29, s30
	s_wait_alu 0xfffe
	s_add_nc_u64 s[34:35], s[2:3], s[34:35]
	s_mul_hi_u32 s27, s29, s30
	s_mul_hi_u32 s28, s29, s31
	s_wait_alu 0xfffe
	s_add_co_u32 s2, s34, s33
	s_add_co_ci_u32 s2, s35, s27
	s_mul_i32 s30, s29, s31
	s_add_co_ci_u32 s31, s28, 0
	s_wait_alu 0xfffe
	s_add_nc_u64 s[30:31], s[2:3], s[30:31]
	s_wait_alu 0xfffe
	v_add_co_u32 v6, s2, v4, s30
	s_delay_alu instid0(VALU_DEP_1) | instskip(SKIP_1) | instid1(VALU_DEP_1)
	s_cmp_lg_u32 s2, 0
	s_add_co_ci_u32 s2, s29, s31
	v_mul_hi_u32 v15, v9, v6
	s_wait_alu 0xfffe
	v_mad_co_u64_u32 v[4:5], null, v9, s2, 0
	v_mad_co_u64_u32 v[11:12], null, v10, v6, 0
	;; [unrolled: 1-line block ×3, first 2 shown]
	s_delay_alu instid0(VALU_DEP_3) | instskip(SKIP_1) | instid1(VALU_DEP_4)
	v_add_co_u32 v4, vcc_lo, v15, v4
	s_wait_alu 0xfffd
	v_add_co_ci_u32_e32 v5, vcc_lo, 0, v5, vcc_lo
	s_delay_alu instid0(VALU_DEP_2) | instskip(SKIP_1) | instid1(VALU_DEP_2)
	v_add_co_u32 v4, vcc_lo, v4, v11
	s_wait_alu 0xfffd
	v_add_co_ci_u32_e32 v4, vcc_lo, v5, v12, vcc_lo
	s_wait_alu 0xfffd
	v_add_co_ci_u32_e32 v5, vcc_lo, 0, v14, vcc_lo
	s_delay_alu instid0(VALU_DEP_2) | instskip(SKIP_1) | instid1(VALU_DEP_2)
	v_add_co_u32 v11, vcc_lo, v4, v13
	s_wait_alu 0xfffd
	v_add_co_ci_u32_e32 v6, vcc_lo, 0, v5, vcc_lo
	s_delay_alu instid0(VALU_DEP_2) | instskip(SKIP_1) | instid1(VALU_DEP_3)
	v_mul_lo_u32 v12, s25, v11
	v_mad_co_u64_u32 v[4:5], null, s24, v11, 0
	v_mul_lo_u32 v13, s24, v6
	s_delay_alu instid0(VALU_DEP_2) | instskip(NEXT) | instid1(VALU_DEP_2)
	v_sub_co_u32 v4, vcc_lo, v9, v4
	v_add3_u32 v5, v5, v13, v12
	s_delay_alu instid0(VALU_DEP_1) | instskip(SKIP_1) | instid1(VALU_DEP_1)
	v_sub_nc_u32_e32 v12, v10, v5
	s_wait_alu 0xfffd
	v_subrev_co_ci_u32_e64 v12, s2, s25, v12, vcc_lo
	v_add_co_u32 v13, s2, v11, 2
	s_wait_alu 0xf1ff
	v_add_co_ci_u32_e64 v14, s2, 0, v6, s2
	v_sub_co_u32 v15, s2, v4, s24
	v_sub_co_ci_u32_e32 v5, vcc_lo, v10, v5, vcc_lo
	s_wait_alu 0xf1ff
	v_subrev_co_ci_u32_e64 v12, s2, 0, v12, s2
	s_delay_alu instid0(VALU_DEP_3) | instskip(NEXT) | instid1(VALU_DEP_3)
	v_cmp_le_u32_e32 vcc_lo, s24, v15
	v_cmp_eq_u32_e64 s2, s25, v5
	s_wait_alu 0xfffd
	v_cndmask_b32_e64 v15, 0, -1, vcc_lo
	v_cmp_le_u32_e32 vcc_lo, s25, v12
	s_wait_alu 0xfffd
	v_cndmask_b32_e64 v16, 0, -1, vcc_lo
	v_cmp_le_u32_e32 vcc_lo, s24, v4
	;; [unrolled: 3-line block ×3, first 2 shown]
	s_wait_alu 0xfffd
	v_cndmask_b32_e64 v17, 0, -1, vcc_lo
	v_cmp_eq_u32_e32 vcc_lo, s25, v12
	s_wait_alu 0xf1ff
	s_delay_alu instid0(VALU_DEP_2)
	v_cndmask_b32_e64 v4, v17, v4, s2
	s_wait_alu 0xfffd
	v_cndmask_b32_e32 v12, v16, v15, vcc_lo
	v_add_co_u32 v15, vcc_lo, v11, 1
	s_wait_alu 0xfffd
	v_add_co_ci_u32_e32 v16, vcc_lo, 0, v6, vcc_lo
	s_delay_alu instid0(VALU_DEP_3) | instskip(SKIP_1) | instid1(VALU_DEP_2)
	v_cmp_ne_u32_e32 vcc_lo, 0, v12
	s_wait_alu 0xfffd
	v_dual_cndmask_b32 v5, v16, v14 :: v_dual_cndmask_b32 v12, v15, v13
	v_cmp_ne_u32_e32 vcc_lo, 0, v4
	s_wait_alu 0xfffd
	s_delay_alu instid0(VALU_DEP_2)
	v_dual_cndmask_b32 v6, v6, v5 :: v_dual_cndmask_b32 v5, v11, v12
.LBB0_4:                                ;   in Loop: Header=BB0_2 Depth=1
	s_wait_alu 0xfffe
	s_and_not1_saveexec_b32 s2, s26
	s_cbranch_execz .LBB0_6
; %bb.5:                                ;   in Loop: Header=BB0_2 Depth=1
	v_cvt_f32_u32_e32 v4, s24
	s_sub_co_i32 s26, 0, s24
	s_delay_alu instid0(VALU_DEP_1) | instskip(NEXT) | instid1(TRANS32_DEP_1)
	v_rcp_iflag_f32_e32 v4, v4
	v_mul_f32_e32 v4, 0x4f7ffffe, v4
	s_delay_alu instid0(VALU_DEP_1) | instskip(SKIP_1) | instid1(VALU_DEP_1)
	v_cvt_u32_f32_e32 v4, v4
	s_wait_alu 0xfffe
	v_mul_lo_u32 v5, s26, v4
	s_delay_alu instid0(VALU_DEP_1) | instskip(NEXT) | instid1(VALU_DEP_1)
	v_mul_hi_u32 v5, v4, v5
	v_add_nc_u32_e32 v4, v4, v5
	s_delay_alu instid0(VALU_DEP_1) | instskip(NEXT) | instid1(VALU_DEP_1)
	v_mul_hi_u32 v4, v9, v4
	v_mul_lo_u32 v5, v4, s24
	v_add_nc_u32_e32 v6, 1, v4
	s_delay_alu instid0(VALU_DEP_2) | instskip(NEXT) | instid1(VALU_DEP_1)
	v_sub_nc_u32_e32 v5, v9, v5
	v_subrev_nc_u32_e32 v11, s24, v5
	v_cmp_le_u32_e32 vcc_lo, s24, v5
	s_wait_alu 0xfffd
	s_delay_alu instid0(VALU_DEP_2) | instskip(NEXT) | instid1(VALU_DEP_1)
	v_dual_cndmask_b32 v5, v5, v11 :: v_dual_cndmask_b32 v4, v4, v6
	v_cmp_le_u32_e32 vcc_lo, s24, v5
	s_delay_alu instid0(VALU_DEP_2) | instskip(SKIP_1) | instid1(VALU_DEP_1)
	v_add_nc_u32_e32 v6, 1, v4
	s_wait_alu 0xfffd
	v_dual_cndmask_b32 v5, v4, v6 :: v_dual_mov_b32 v6, v3
.LBB0_6:                                ;   in Loop: Header=BB0_2 Depth=1
	s_wait_alu 0xfffe
	s_or_b32 exec_lo, exec_lo, s2
	s_delay_alu instid0(VALU_DEP_1) | instskip(NEXT) | instid1(VALU_DEP_2)
	v_mul_lo_u32 v4, v6, s24
	v_mul_lo_u32 v13, v5, s25
	s_load_b64 s[26:27], s[18:19], 0x0
	v_mad_co_u64_u32 v[11:12], null, v5, s24, 0
	s_load_b64 s[24:25], s[16:17], 0x0
	s_add_nc_u64 s[20:21], s[20:21], 1
	s_add_nc_u64 s[16:17], s[16:17], 8
	s_wait_alu 0xfffe
	v_cmp_ge_u64_e64 s2, s[20:21], s[10:11]
	s_add_nc_u64 s[18:19], s[18:19], 8
	s_add_nc_u64 s[22:23], s[22:23], 8
	v_add3_u32 v4, v12, v13, v4
	v_sub_co_u32 v9, vcc_lo, v9, v11
	s_wait_alu 0xfffd
	s_delay_alu instid0(VALU_DEP_2) | instskip(SKIP_2) | instid1(VALU_DEP_1)
	v_sub_co_ci_u32_e32 v4, vcc_lo, v10, v4, vcc_lo
	s_and_b32 vcc_lo, exec_lo, s2
	s_wait_kmcnt 0x0
	v_mul_lo_u32 v10, s26, v4
	v_mul_lo_u32 v11, s27, v9
	v_mad_co_u64_u32 v[7:8], null, s26, v9, v[7:8]
	v_mul_lo_u32 v4, s24, v4
	v_mul_lo_u32 v12, s25, v9
	v_mad_co_u64_u32 v[1:2], null, s24, v9, v[1:2]
	s_delay_alu instid0(VALU_DEP_4) | instskip(NEXT) | instid1(VALU_DEP_2)
	v_add3_u32 v8, v11, v8, v10
	v_add3_u32 v2, v12, v2, v4
	s_wait_alu 0xfffe
	s_cbranch_vccnz .LBB0_9
; %bb.7:                                ;   in Loop: Header=BB0_2 Depth=1
	v_dual_mov_b32 v10, v6 :: v_dual_mov_b32 v9, v5
	s_branch .LBB0_2
.LBB0_8:
	v_dual_mov_b32 v1, v7 :: v_dual_mov_b32 v2, v8
	v_dual_mov_b32 v5, v9 :: v_dual_mov_b32 v6, v10
.LBB0_9:
	s_load_b64 s[0:1], s[0:1], 0x28
	v_mul_hi_u32 v4, 0x1e1e1e2, v0
                                        ; implicit-def: $vgpr3
	s_wait_kmcnt 0x0
	s_delay_alu instid0(VALU_DEP_2) | instskip(SKIP_1) | instid1(VALU_DEP_1)
	v_cmp_gt_u64_e32 vcc_lo, s[0:1], v[5:6]
	v_cmp_le_u64_e64 s0, s[0:1], v[5:6]
	s_and_saveexec_b32 s1, s0
	s_wait_alu 0xfffe
	s_xor_b32 s0, exec_lo, s1
; %bb.10:
	s_delay_alu instid0(VALU_DEP_3) | instskip(NEXT) | instid1(VALU_DEP_1)
	v_mul_u32_u24_e32 v3, 0x88, v4
                                        ; implicit-def: $vgpr4
                                        ; implicit-def: $vgpr7_vgpr8
	v_sub_nc_u32_e32 v3, v0, v3
                                        ; implicit-def: $vgpr0
; %bb.11:
	s_wait_alu 0xfffe
	s_or_saveexec_b32 s1, s0
	s_lshl_b64 s[2:3], s[10:11], 3
	s_wait_alu 0xfffe
	s_xor_b32 exec_lo, exec_lo, s1
	s_cbranch_execz .LBB0_13
; %bb.12:
	s_add_nc_u64 s[10:11], s[12:13], s[2:3]
	v_lshlrev_b64_e32 v[7:8], 2, v[7:8]
	s_load_b64 s[10:11], s[10:11], 0x0
	s_wait_kmcnt 0x0
	v_mul_lo_u32 v3, s11, v5
	v_mul_lo_u32 v11, s10, v6
	v_mad_co_u64_u32 v[9:10], null, s10, v5, 0
	s_delay_alu instid0(VALU_DEP_1) | instskip(SKIP_1) | instid1(VALU_DEP_2)
	v_add3_u32 v10, v10, v11, v3
	v_mul_u32_u24_e32 v3, 0x88, v4
	v_lshlrev_b64_e32 v[9:10], 2, v[9:10]
	s_delay_alu instid0(VALU_DEP_2) | instskip(NEXT) | instid1(VALU_DEP_2)
	v_sub_nc_u32_e32 v3, v0, v3
	v_add_co_u32 v0, s0, s4, v9
	s_wait_alu 0xf1ff
	s_delay_alu instid0(VALU_DEP_3) | instskip(NEXT) | instid1(VALU_DEP_3)
	v_add_co_ci_u32_e64 v4, s0, s5, v10, s0
	v_lshlrev_b32_e32 v9, 2, v3
	s_delay_alu instid0(VALU_DEP_3) | instskip(SKIP_1) | instid1(VALU_DEP_3)
	v_add_co_u32 v0, s0, v0, v7
	s_wait_alu 0xf1ff
	v_add_co_ci_u32_e64 v4, s0, v4, v8, s0
	s_delay_alu instid0(VALU_DEP_2) | instskip(SKIP_1) | instid1(VALU_DEP_2)
	v_add_co_u32 v7, s0, v0, v9
	s_wait_alu 0xf1ff
	v_add_co_ci_u32_e64 v8, s0, 0, v4, s0
	s_clause 0xc
	global_load_b32 v0, v[7:8], off
	global_load_b32 v4, v[7:8], off offset:544
	global_load_b32 v10, v[7:8], off offset:1088
	;; [unrolled: 1-line block ×12, first 2 shown]
	v_add_nc_u32_e32 v8, 0, v9
	s_delay_alu instid0(VALU_DEP_1)
	v_add_nc_u32_e32 v9, 0x400, v8
	v_add_nc_u32_e32 v20, 0x800, v8
	;; [unrolled: 1-line block ×5, first 2 shown]
	s_wait_loadcnt 0xb
	ds_store_2addr_b32 v8, v0, v4 offset1:136
	s_wait_loadcnt 0x9
	ds_store_2addr_b32 v9, v10, v11 offset0:16 offset1:152
	s_wait_loadcnt 0x7
	ds_store_2addr_b32 v20, v12, v13 offset0:32 offset1:168
	;; [unrolled: 2-line block ×5, first 2 shown]
	s_wait_loadcnt 0x0
	ds_store_b32 v8, v7 offset:6528
.LBB0_13:
	s_or_b32 exec_lo, exec_lo, s1
	v_lshl_add_u32 v0, v3, 2, 0
	global_wb scope:SCOPE_SE
	s_wait_dscnt 0x0
	s_barrier_signal -1
	s_barrier_wait -1
	global_inv scope:SCOPE_SE
	ds_load_2addr_b32 v[11:12], v0 offset1:104
	ds_load_b32 v33, v0 offset:6656
	v_add_nc_u32_e32 v4, 0x1600, v0
	v_add_nc_u32_e32 v7, 0x200, v0
	;; [unrolled: 1-line block ×4, first 2 shown]
	ds_load_2addr_b32 v[13:14], v4 offset0:48 offset1:152
	ds_load_2addr_b32 v[23:24], v7 offset0:80 offset1:184
	v_add_nc_u32_e32 v30, 0xc00, v0
	v_add_nc_u32_e32 v4, 0x1200, v0
	;; [unrolled: 1-line block ×3, first 2 shown]
	ds_load_2addr_b32 v[21:22], v29 offset0:112 offset1:216
	ds_load_2addr_b32 v[19:20], v30 offset0:64 offset1:168
	;; [unrolled: 1-line block ×5, first 2 shown]
	s_add_nc_u64 s[2:3], s[14:15], s[2:3]
	s_mov_b32 s1, exec_lo
	global_wb scope:SCOPE_SE
	s_wait_dscnt 0x0
	s_barrier_signal -1
	s_barrier_wait -1
	global_inv scope:SCOPE_SE
	v_lshrrev_b32_e32 v50, 16, v11
	v_pk_add_f16 v35, v33, v12
	v_pk_add_f16 v31, v12, v33 neg_lo:[0,1] neg_hi:[0,1]
	s_delay_alu instid0(VALU_DEP_2) | instskip(SKIP_1) | instid1(VALU_DEP_3)
	v_lshrrev_b32_e32 v80, 16, v35
	v_pk_add_f16 v36, v14, v23
	v_lshrrev_b32_e32 v98, 16, v31
	v_pk_add_f16 v32, v23, v14 neg_lo:[0,1] neg_hi:[0,1]
	v_pk_add_f16 v39, v13, v24
	v_mul_f16_e32 v52, 0x39e9, v80
	v_lshrrev_b32_e32 v85, 16, v36
	v_mul_f16_e32 v47, 0xb964, v98
	v_mul_f16_e32 v59, 0x3722, v80
	v_lshrrev_b32_e32 v103, 16, v32
	v_fmamk_f16 v7, v31, 0xb964, v52
	v_mul_f16_e32 v53, 0x2de8, v85
	v_mul_f16_e32 v55, 0xbb29, v98
	;; [unrolled: 1-line block ×3, first 2 shown]
	v_fma_f16 v4, v35, 0x39e9, -v47
	v_fmamk_f16 v10, v31, 0xbb29, v59
	v_mul_f16_e32 v46, 0xbbf7, v103
	v_add_f16_e32 v7, v50, v7
	v_fmamk_f16 v37, v32, 0xbbf7, v53
	v_mul_f16_e32 v62, 0xb8d2, v85
	v_mul_f16_e32 v71, 0x2de8, v80
	v_fma_f16 v8, v35, 0x3722, -v55
	v_fma_f16 v27, v35, 0x2de8, -v66
	v_add_f16_e32 v4, v11, v4
	v_add_f16_e32 v10, v50, v10
	v_fma_f16 v34, v36, 0x2de8, -v46
	v_mul_f16_e32 v58, 0xba62, v103
	v_add_f16_e32 v7, v37, v7
	v_fmamk_f16 v37, v32, 0xba62, v62
	v_mul_f16_e32 v70, 0xb1e1, v103
	v_lshrrev_b32_e32 v87, 16, v39
	v_add_f16_e32 v8, v11, v8
	v_fmamk_f16 v28, v31, 0xbbf7, v71
	v_add_f16_e32 v27, v11, v27
	v_add_f16_e32 v4, v34, v4
	v_fma_f16 v38, v36, 0xb8d2, -v58
	v_pk_add_f16 v34, v24, v13 neg_lo:[0,1] neg_hi:[0,1]
	v_add_f16_e32 v10, v37, v10
	v_mul_f16_e32 v78, 0xbbdd, v85
	v_fma_f16 v37, v36, 0xbbdd, -v70
	v_mul_f16_e32 v57, 0xb8d2, v87
	v_add_f16_e32 v28, v50, v28
	v_add_f16_e32 v8, v38, v8
	v_lshrrev_b32_e32 v108, 16, v34
	v_fmamk_f16 v38, v32, 0xb1e1, v78
	v_add_f16_e32 v27, v37, v27
	v_fmamk_f16 v37, v34, 0xba62, v57
	v_mul_f16_e32 v68, 0xbbdd, v87
	v_mul_f16_e32 v51, 0xba62, v108
	v_add_f16_e32 v28, v38, v28
	v_mul_f16_e32 v76, 0x3bb2, v108
	v_add_f16_e32 v7, v37, v7
	v_pk_add_f16 v37, v25, v16 neg_lo:[0,1] neg_hi:[0,1]
	v_fmamk_f16 v38, v34, 0x31e1, v68
	v_fma_f16 v40, v39, 0xb8d2, -v51
	v_pk_add_f16 v42, v16, v25
	v_mul_f16_e32 v84, 0xb461, v87
	v_lshrrev_b32_e32 v111, 16, v37
	v_add_f16_e32 v10, v38, v10
	v_fma_f16 v38, v39, 0xb461, -v76
	v_mul_f16_e32 v61, 0x31e1, v108
	v_add_f16_e32 v4, v40, v4
	v_lshrrev_b32_e32 v90, 16, v42
	v_fmamk_f16 v40, v34, 0x3bb2, v84
	v_mul_f16_e32 v54, 0xb1e1, v111
	v_add_f16_e32 v27, v38, v27
	v_pk_add_f16 v38, v26, v15 neg_lo:[0,1] neg_hi:[0,1]
	v_fma_f16 v41, v39, 0xbbdd, -v61
	v_mul_f16_e32 v56, 0xbbdd, v90
	v_mul_f16_e32 v67, 0x3bb2, v111
	v_add_f16_e32 v28, v40, v28
	v_fma_f16 v40, v42, 0xbbdd, -v54
	v_lshrrev_b32_e32 v112, 16, v38
	v_add_f16_e32 v8, v41, v8
	v_fmamk_f16 v41, v37, 0xb1e1, v56
	v_fma_f16 v43, v42, 0xb461, -v67
	v_add_f16_e32 v4, v40, v4
	v_pk_add_f16 v44, v15, v26
	v_pk_add_f16 v40, v21, v18 neg_lo:[0,1] neg_hi:[0,1]
	v_mul_f16_e32 v60, 0x3836, v112
	v_add_f16_e32 v82, v41, v7
	v_add_f16_e32 v7, v43, v8
	v_mul_f16_e32 v69, 0x3964, v112
	v_lshrrev_b32_e32 v113, 16, v40
	v_fma_f16 v43, v44, 0xbacd, -v60
	v_pk_add_f16 v41, v22, v17 neg_lo:[0,1] neg_hi:[0,1]
	v_pk_add_f16 v45, v18, v21
	v_fma_f16 v48, v44, 0x39e9, -v69
	v_mul_f16_e32 v64, 0x3bb2, v113
	v_mul_f16_e32 v75, 0xb5c8, v113
	v_add_f16_e32 v4, v43, v4
	v_lshrrev_b32_e32 v114, 16, v41
	v_pk_add_f16 v43, v19, v20 neg_lo:[0,1] neg_hi:[0,1]
	v_mul_f16_e32 v72, 0xb461, v90
	v_add_f16_e32 v7, v48, v7
	v_fma_f16 v48, v45, 0xb461, -v64
	v_fma_f16 v63, v45, 0x3b76, -v75
	v_pk_add_f16 v49, v17, v22
	v_mul_f16_e32 v65, 0x3b29, v114
	v_lshrrev_b32_e32 v115, 16, v43
	v_fmamk_f16 v8, v37, 0x3bb2, v72
	v_mul_f16_e32 v81, 0x35c8, v111
	v_mul_f16_e32 v73, 0xbbf7, v114
	v_add_f16_e32 v4, v48, v4
	v_add_f16_e32 v7, v63, v7
	v_fma_f16 v77, v49, 0x3722, -v65
	v_pk_add_f16 v48, v20, v19
	v_mul_f16_e32 v63, 0x35c8, v115
	v_add_f16_e32 v10, v8, v10
	v_fma_f16 v8, v42, 0x3b76, -v81
	v_fma_f16 v79, v49, 0x2de8, -v73
	v_mul_f16_e32 v74, 0xb836, v115
	v_mul_f16_e32 v100, 0x3b76, v90
	v_add_f16_e32 v4, v77, v4
	v_fma_f16 v77, v48, 0x3b76, -v63
	v_lshrrev_b32_e32 v106, 16, v44
	v_add_f16_e32 v7, v79, v7
	v_fma_f16 v79, v48, 0xbacd, -v74
	v_fmamk_f16 v83, v37, 0x35c8, v100
	v_add_f16_e32 v27, v8, v27
	v_add_f16_e32 v8, v77, v4
	v_mul_f16_e32 v77, 0xbacd, v106
	v_lshrrev_b32_e32 v107, 16, v45
	v_add_f16_e32 v7, v79, v7
	v_add_f16_e32 v4, v83, v28
	v_mul_f16_e32 v89, 0x39e9, v106
	v_mul_f16_e32 v95, 0xbb29, v112
	v_fmamk_f16 v28, v38, 0x3836, v77
	v_mul_f16_e32 v79, 0xb461, v107
	v_mul_f16_e32 v101, 0x3722, v106
	v_fmamk_f16 v83, v38, 0x3964, v89
	v_fma_f16 v86, v44, 0x3722, -v95
	v_add_f16_e32 v28, v28, v82
	v_fmamk_f16 v82, v40, 0x3bb2, v79
	v_mul_f16_e32 v91, 0x3b76, v107
	v_mul_f16_e32 v96, 0xb836, v113
	v_lshrrev_b32_e32 v110, 16, v49
	v_fmamk_f16 v88, v38, 0xbb29, v101
	v_add_f16_e32 v10, v83, v10
	v_add_f16_e32 v27, v86, v27
	v_mul_f16_e32 v102, 0xbacd, v107
	v_add_f16_e32 v28, v82, v28
	v_fmamk_f16 v83, v40, 0xb5c8, v91
	v_fma_f16 v86, v45, 0xbacd, -v96
	v_mul_f16_e32 v82, 0x3722, v110
	v_mul_f16_e32 v92, 0x2de8, v110
	v_add_f16_e32 v4, v88, v4
	v_fmamk_f16 v88, v40, 0xb836, v102
	v_add_f16_e32 v10, v83, v10
	v_add_f16_e32 v27, v86, v27
	v_fmamk_f16 v83, v41, 0x3b29, v82
	v_fmamk_f16 v86, v41, 0xbbf7, v92
	v_mul_f16_e32 v104, 0xb8d2, v110
	v_mul_f16_e32 v99, 0x3a62, v114
	v_lshrrev_b32_e32 v109, 16, v48
	v_add_f16_e32 v4, v88, v4
	v_add_f16_e32 v28, v83, v28
	;; [unrolled: 1-line block ×3, first 2 shown]
	v_fmamk_f16 v83, v41, 0x3a62, v104
	v_fma_f16 v88, v49, 0xb8d2, -v99
	v_mul_f16_e32 v86, 0x3b76, v109
	v_mul_f16_e32 v94, 0xbacd, v109
	;; [unrolled: 1-line block ×4, first 2 shown]
	v_add_f16_e32 v83, v83, v4
	v_fmamk_f16 v4, v43, 0x35c8, v86
	v_fmamk_f16 v93, v43, 0xb836, v94
	;; [unrolled: 1-line block ×3, first 2 shown]
	v_add_f16_e32 v88, v88, v27
	v_fma_f16 v117, v48, 0x39e9, -v97
	v_add_f16_e32 v4, v4, v28
	v_add_f16_e32 v28, v93, v10
	;; [unrolled: 1-line block ×3, first 2 shown]
	s_delay_alu instid0(VALU_DEP_4)
	v_add_f16_e32 v10, v117, v88
	v_cmpx_gt_u32_e32 0x68, v3
	s_cbranch_execz .LBB0_15
; %bb.14:
	v_mul_f16_e32 v116, 0xbbb2, v31
	v_mul_f16_e32 v118, 0xbbb2, v98
	;; [unrolled: 1-line block ×5, first 2 shown]
	v_fmamk_f16 v83, v80, 0xb461, v116
	v_fma_f16 v93, v35, 0xb461, -v118
	v_mul_f16_e32 v121, 0x3964, v108
	v_fmamk_f16 v88, v85, 0xbacd, v117
	v_fma_f16 v124, v36, 0xbacd, -v119
	v_add_f16_e32 v83, v50, v83
	v_add_f16_e32 v93, v11, v93
	v_mul_f16_e32 v122, 0xbb29, v37
	v_mul_f16_e32 v123, 0xbb29, v111
	v_fmamk_f16 v125, v87, 0x39e9, v120
	v_add_f16_e32 v83, v88, v83
	v_fma_f16 v88, v39, 0x39e9, -v121
	v_add_f16_e32 v93, v124, v93
	v_mul_f16_e32 v126, 0xb1e1, v38
	v_fmamk_f16 v127, v90, 0x3722, v122
	v_add_f16_e32 v83, v125, v83
	v_mul_f16_e32 v124, 0xb1e1, v112
	v_fma_f16 v125, v42, 0x3722, -v123
	v_add_f16_e32 v88, v88, v93
	v_fma_f16 v128, 0xbbdd, v106, v126
	v_add_f16_e32 v83, v127, v83
	v_mul_f16_e32 v127, 0x3bf7, v40
	v_mul_f16_e64 v129, 0x3bf7, v113
	v_fma_f16 v93, v44, 0xbbdd, -v124
	v_add_f16_e32 v88, v125, v88
	v_add_f16_e64 v83, v128, v83
	v_fmamk_f16 v125, v107, 0x2de8, v127
	v_mul_f16_e64 v128, 0xb5c8, v41
	v_fma_f16 v130, v45, 0x2de8, -v129
	v_add_f16_e32 v88, v93, v88
	v_mul_f16_e64 v131, 0xba62, v31
	v_add_f16_e32 v83, v125, v83
	v_fma_f16 v93, 0x3b76, v110, v128
	v_mul_f16_e64 v132, 0xb5c8, v114
	v_add_f16_e64 v88, v130, v88
	v_fma_f16 v125, 0xb8d2, v80, v131
	v_mul_f16_e64 v130, 0x3bb2, v32
	v_mul_f16_e64 v133, 0xba62, v43
	v_add_f16_e32 v83, v93, v83
	v_mul_f16_e64 v134, 0xb5c8, v34
	v_add_f16_e32 v93, v50, v125
	v_fma_f16 v125, 0xb461, v85, v130
	v_fma_f16 v135, v49, 0x3b76, -v132
	v_fma_f16 v136, 0xb8d2, v109, v133
	v_mul_f16_e64 v138, 0xb836, v37
	v_mul_f16_e64 v141, 0x3bb2, v103
	v_add_f16_e32 v93, v125, v93
	v_fma_f16 v125, 0x3b76, v87, v134
	v_add_f16_e64 v88, v135, v88
	v_add_f16_e64 v83, v136, v83
	v_mul_f16_e64 v135, 0xba62, v98
	v_mul_f16_e64 v136, 0x3bf7, v38
	v_add_f16_e32 v93, v125, v93
	v_fma_f16 v125, 0xbacd, v90, v138
	v_mul_f16_e64 v142, 0xb964, v40
	v_fma_f16 v140, v35, 0xb8d2, -v135
	v_mul_f16_e64 v137, 0xba62, v115
	v_fma_f16 v143, v36, 0xb461, -v141
	v_add_f16_e32 v93, v125, v93
	v_fma_f16 v125, 0x2de8, v106, v136
	v_add_f16_e64 v140, v11, v140
	v_mul_f16_e64 v144, 0xb5c8, v108
	v_mul_f16_e64 v145, 0xb1e1, v41
	v_fma_f16 v139, v48, 0xb8d2, -v137
	v_add_f16_e32 v93, v125, v93
	v_fma_f16 v125, 0x39e9, v107, v142
	v_add_f16_e64 v140, v143, v140
	v_fma_f16 v143, v39, 0x3b76, -v144
	v_mul_f16_e64 v146, 0xb836, v111
	v_mul_f16_e64 v147, 0xb836, v31
	v_add_f16_e32 v93, v125, v93
	v_fma_f16 v125, 0xbbdd, v110, v145
	v_add_f16_e64 v88, v139, v88
	v_add_f16_e64 v139, v143, v140
	v_fma_f16 v140, v42, 0xbacd, -v146
	v_mul_f16_e64 v143, 0x3bf7, v112
	v_add_f16_e32 v93, v125, v93
	v_mul_f16_e32 v125, 0x3b29, v43
	v_fma_f16 v150, 0xbacd, v80, v147
	v_mul_f16_e64 v151, 0x3b29, v32
	v_add_f16_e64 v139, v140, v139
	v_fma_f16 v140, v44, 0x2de8, -v143
	v_mul_f16_e64 v148, 0xb964, v113
	v_fma_f16 v149, 0x3722, v109, v125
	v_add_f16_e64 v150, v50, v150
	v_fma_f16 v153, 0x3722, v85, v151
	v_mul_f16_e64 v154, 0xbbf7, v34
	v_fma_f16 v147, v80, 0xbacd, -v147
	v_add_f16_e64 v139, v140, v139
	v_fma_f16 v140, v45, 0x39e9, -v148
	v_mul_f16_e64 v152, 0xb1e1, v114
	v_add_f16_e64 v93, v149, v93
	v_add_f16_e64 v149, v153, v150
	v_fma_f16 v150, 0x2de8, v87, v154
	v_mul_f16_e64 v153, 0x3a62, v37
	v_mul_f16_e64 v155, 0xb836, v98
	v_add_f16_e64 v147, v50, v147
	v_fma_f16 v151, v85, 0x3722, -v151
	v_add_f16_e64 v139, v140, v139
	v_fma_f16 v140, v49, 0xbbdd, -v152
	v_add_f16_e64 v98, v150, v149
	v_fma_f16 v149, 0xb8d2, v90, v153
	v_mul_f16_e64 v150, 0xb5c8, v38
	v_fma_f16 v157, v35, 0xbacd, -v155
	v_mul_f16_e64 v158, 0x3b29, v103
	v_add_f16_e64 v147, v151, v147
	v_fma_f16 v151, v87, 0x2de8, -v154
	v_fmac_f16_e64 v155, 0xbacd, v35
	v_add_f16_e64 v139, v140, v139
	v_mul_f16_e64 v140, 0x3b29, v115
	v_add_f16_e64 v98, v149, v98
	v_fma_f16 v103, 0x3b76, v106, v150
	v_mul_f16_e64 v149, 0xb1e1, v40
	v_add_f16_e64 v157, v11, v157
	v_fma_f16 v159, v36, 0x3722, -v158
	v_mul_f16_e32 v108, 0xbbf7, v108
	v_add_f16_e64 v147, v151, v147
	v_fma_f16 v151, v90, 0xb8d2, -v153
	v_add_f16_e64 v153, v11, v155
	v_fmac_f16_e64 v158, 0x3722, v36
	v_fma_f16 v156, v48, 0x3722, -v140
	v_add_f16_e32 v98, v103, v98
	v_fma_f16 v103, 0xbbdd, v107, v149
	v_add_f16_e64 v157, v159, v157
	v_fma_f16 v159, v39, 0x2de8, -v108
	v_mul_f16_e32 v111, 0x3a62, v111
	v_add_f16_e64 v147, v151, v147
	v_add_f16_e64 v151, v158, v153
	v_fmac_f16_e32 v108, 0x2de8, v39
	v_fma_f16 v131, v80, 0xb8d2, -v131
	v_add_f16_e32 v103, v103, v98
	v_add_f16_e64 v98, v156, v139
	v_add_f16_e64 v139, v159, v157
	v_fma_f16 v156, v42, 0xb8d2, -v111
	v_mul_f16_e32 v112, 0xb5c8, v112
	v_add_f16_e64 v108, v108, v151
	v_fmac_f16_e32 v111, 0xb8d2, v42
	v_add_f16_e64 v131, v50, v131
	v_fma_f16 v130, v85, 0xb461, -v130
	v_fma_f16 v80, v80, 0xb461, -v116
	v_add_f16_e64 v139, v156, v139
	v_fma_f16 v156, v44, 0x3b76, -v112
	v_add_f16_e32 v111, v111, v108
	v_fmac_f16_e32 v112, 0x3b76, v44
	v_add_f16_e64 v130, v130, v131
	v_fma_f16 v131, v87, 0x3b76, -v134
	v_fma_f16 v85, v85, 0xbacd, -v117
	v_add_f16_e32 v80, v50, v80
	v_mul_f16_e32 v113, 0xb1e1, v113
	v_add_f16_e32 v111, v112, v111
	v_add_f16_e64 v112, v131, v130
	v_fma_f16 v130, v90, 0xbacd, -v138
	v_add_f16_e32 v80, v85, v80
	v_fma_f16 v85, v87, 0x39e9, -v120
	v_add_f16_e64 v139, v156, v139
	v_fma_f16 v156, v45, 0xbbdd, -v113
	v_mul_f16_e32 v114, 0x3964, v114
	v_fmac_f16_e64 v135, 0xb8d2, v35
	v_fmac_f16_e32 v113, 0xbbdd, v45
	v_add_f16_e64 v112, v130, v112
	v_fma_f16 v130, v106, 0x2de8, -v136
	v_add_f16_e32 v80, v85, v80
	v_fma_f16 v85, v90, 0x3722, -v122
	v_fma_f16 v154, v49, 0x39e9, -v114
	v_add_f16_e64 v131, v11, v135
	v_fmac_f16_e64 v141, 0xb461, v36
	v_add_f16_e32 v111, v113, v111
	v_fmac_f16_e32 v114, 0x39e9, v49
	v_add_f16_e64 v112, v130, v112
	v_fma_f16 v130, v107, 0x39e9, -v142
	v_add_f16_e32 v80, v85, v80
	v_fma_f16 v85, v106, 0xbbdd, -v126
	v_fma_f16 v150, v106, 0x3b76, -v150
	;; [unrolled: 1-line block ×3, first 2 shown]
	v_add_f16_e64 v113, v141, v131
	v_fmac_f16_e64 v144, 0x3b76, v39
	v_add_f16_e32 v111, v114, v111
	v_add_f16_e64 v112, v130, v112
	v_fma_f16 v114, v110, 0xbbdd, -v145
	v_add_f16_e32 v80, v85, v80
	v_fma_f16 v107, v107, 0x2de8, -v127
	v_mul_f16_e64 v160, 0x3964, v41
	v_add_f16_e64 v147, v150, v147
	v_add_f16_e64 v113, v144, v113
	v_fmac_f16_e64 v146, 0xbacd, v42
	v_add_f16_e32 v112, v114, v112
	v_fma_f16 v114, v109, 0x3722, -v125
	v_add_f16_e32 v80, v107, v80
	v_mul_f16_e32 v107, 0xbbf7, v31
	v_fma_f16 v161, 0x39e9, v110, v160
	v_add_f16_e64 v147, v149, v147
	v_fma_f16 v149, v110, 0x39e9, -v160
	v_add_f16_e64 v113, v146, v113
	v_fmac_f16_e64 v143, 0x2de8, v44
	v_add_f16_e32 v106, v114, v112
	v_fma_f16 v110, v110, 0x3b76, -v128
	v_mul_f16_e32 v114, 0xb1e1, v32
	v_sub_f16_e32 v71, v71, v107
	v_add_f16_e64 v113, v143, v113
	v_fmac_f16_e64 v148, 0x39e9, v45
	v_fmac_f16_e32 v118, 0xb461, v35
	v_sub_f16_e32 v78, v78, v114
	v_add_f16_e32 v71, v50, v71
	v_add_f16_e32 v80, v110, v80
	v_mul_f16_e32 v110, 0x3bb2, v34
	v_mul_f16_e32 v115, 0xbbb2, v115
	v_add_f16_e64 v87, v148, v113
	v_add_f16_e32 v113, v11, v118
	v_fmac_f16_e32 v119, 0xbacd, v36
	v_mul_f16_e32 v107, 0x2de8, v35
	v_add_f16_e32 v71, v78, v71
	v_sub_f16_e32 v84, v84, v110
	v_mul_f16_e32 v117, 0x35c8, v37
	v_fma_f16 v153, v48, 0xb461, -v115
	v_fmac_f16_e32 v115, 0xb461, v48
	v_add_f16_e32 v90, v119, v113
	v_mul_f16_e32 v118, 0xbbdd, v36
	v_add_f16_e32 v71, v84, v71
	v_sub_f16_e32 v100, v100, v117
	v_mul_f16_e32 v119, 0xbb29, v38
	v_add_f16_e32 v66, v107, v66
	v_add_f16_e32 v111, v115, v111
	v_mul_f16_e32 v112, 0xb964, v31
	v_mul_f16_e32 v115, 0xbb29, v31
	v_add_f16_e32 v71, v100, v71
	v_mul_f16_e32 v107, 0xb461, v39
	v_sub_f16_e32 v101, v101, v119
	v_mul_f16_e32 v119, 0xb836, v40
	v_add_f16_e32 v70, v118, v70
	v_add_f16_e32 v66, v11, v66
	v_mul_f16_e64 v157, 0xbbb2, v43
	v_mul_f16_e32 v113, 0x3722, v35
	v_mul_f16_e32 v116, 0xbbf7, v32
	v_add_f16_e32 v71, v101, v71
	v_sub_f16_e32 v102, v102, v119
	v_add_f16_e32 v66, v70, v66
	v_add_f16_e32 v76, v107, v76
	v_sub_f16_e32 v59, v59, v115
	v_sub_f16_e32 v52, v52, v112
	v_fma_f16 v159, 0xb461, v109, v157
	v_fma_f16 v135, v109, 0xb461, -v157
	v_mul_f16_e32 v85, 0x39e9, v35
	v_mul_f16_e32 v78, 0xb8d2, v36
	v_fma_f16 v109, v109, 0xb8d2, -v133
	v_mul_f16_e32 v117, 0xba62, v34
	v_add_f16_e32 v71, v102, v71
	v_mul_f16_e32 v102, 0x3b76, v42
	v_add_f16_e32 v66, v76, v66
	v_mul_f16_e32 v76, 0x3964, v43
	v_add_f16_e32 v59, v50, v59
	v_add_f16_e32 v55, v113, v55
	v_add_f16_e32 v50, v50, v52
	v_sub_f16_e32 v52, v53, v116
	v_pk_add_f16 v12, v11, v12
	v_mul_f16_e32 v114, 0x2de8, v36
	v_add_f16_e32 v80, v109, v80
	v_mul_f16_e32 v109, 0xbbdd, v39
	v_mul_f16_e32 v101, 0xb1e1, v37
	;; [unrolled: 1-line block ×3, first 2 shown]
	v_add_f16_e32 v81, v102, v81
	v_sub_f16_e32 v76, v105, v76
	v_mul_f16_e32 v105, 0x3722, v44
	v_add_f16_e32 v58, v78, v58
	v_add_f16_e32 v55, v11, v55
	v_add_f16_e32 v50, v52, v50
	v_sub_f16_e32 v52, v57, v117
	v_add_f16_e32 v47, v85, v47
	v_pk_add_f16 v12, v12, v23
	v_mul_f16_e32 v110, 0xba62, v32
	v_mul_f16_e32 v84, 0xb8d2, v39
	;; [unrolled: 1-line block ×3, first 2 shown]
	v_sub_f16_e32 v70, v104, v70
	v_mul_f16_e32 v102, 0x3836, v38
	v_add_f16_e32 v66, v81, v66
	v_add_f16_e32 v95, v105, v95
	v_mul_f16_e32 v105, 0xbacd, v45
	v_add_f16_e32 v55, v58, v55
	v_add_f16_e32 v58, v109, v61
	;; [unrolled: 1-line block ×3, first 2 shown]
	v_sub_f16_e32 v52, v56, v101
	v_add_f16_e32 v47, v11, v47
	v_add_f16_e32 v46, v114, v46
	v_pk_add_f16 v12, v12, v24
	v_mul_f16_e32 v118, 0xbbdd, v42
	v_add_f16_e32 v70, v70, v71
	v_mul_f16_e32 v71, 0x39e9, v44
	v_sub_f16_e32 v62, v62, v110
	v_mul_f16_e32 v110, 0x3bb2, v40
	v_add_f16_e32 v66, v95, v66
	v_add_f16_e32 v96, v105, v96
	;; [unrolled: 1-line block ×5, first 2 shown]
	v_sub_f16_e32 v50, v77, v102
	v_add_f16_e32 v46, v46, v47
	v_add_f16_e32 v24, v84, v51
	v_pk_add_f16 v12, v12, v25
	v_mul_f16_e32 v107, 0x3bb2, v37
	v_mul_f16_e32 v104, 0xbacd, v44
	;; [unrolled: 1-line block ×3, first 2 shown]
	v_add_f16_e32 v59, v62, v59
	v_mul_f16_e32 v62, 0xb8d2, v49
	v_add_f16_e32 v66, v96, v66
	v_mul_f16_e32 v96, 0x3b29, v41
	v_add_f16_e32 v55, v58, v55
	v_add_f16_e32 v58, v71, v69
	;; [unrolled: 1-line block ×3, first 2 shown]
	v_sub_f16_e32 v47, v79, v110
	v_add_f16_e32 v24, v24, v46
	v_add_f16_e32 v25, v118, v54
	v_pk_add_f16 v12, v12, v26
	v_mul_f16_e32 v115, 0xb461, v45
	v_add_f16_e32 v62, v62, v99
	v_mul_f16_e32 v99, 0x2de8, v49
	v_sub_f16_e32 v72, v72, v107
	v_mul_f16_e32 v107, 0x35c8, v43
	v_add_f16_e32 v55, v58, v55
	v_add_f16_e32 v58, v95, v75
	;; [unrolled: 1-line block ×3, first 2 shown]
	v_sub_f16_e32 v46, v82, v96
	v_add_f16_e32 v24, v25, v24
	v_add_f16_e32 v25, v104, v60
	v_pk_add_f16 v12, v12, v21
	v_pk_mul_f16 v21, 0xb5c8, v31 op_sel_hi:[0,1]
	v_mul_f16_e32 v100, 0x31e1, v34
	v_mul_f16_e32 v78, 0xbacd, v48
	v_add_f16_e32 v55, v58, v55
	v_add_f16_e32 v56, v99, v73
	;; [unrolled: 1-line block ×3, first 2 shown]
	v_sub_f16_e32 v46, v86, v107
	v_add_f16_e32 v24, v25, v24
	v_add_f16_e32 v25, v115, v64
	v_pk_add_f16 v12, v12, v22
	v_pk_fma_f16 v22, 0x3b76, v35, v21 op_sel:[0,0,1] op_sel_hi:[0,1,0]
	v_pk_fma_f16 v21, 0x3b76, v35, v21 op_sel:[0,0,1] op_sel_hi:[0,1,0] neg_lo:[0,0,1] neg_hi:[0,0,1]
	v_pk_mul_f16 v47, 0xb964, v32 op_sel_hi:[0,1]
	v_sub_f16_e32 v68, v68, v100
	v_mul_f16_e32 v100, 0x3722, v49
	v_add_f16_e32 v52, v56, v55
	v_add_f16_e32 v50, v78, v74
	;; [unrolled: 1-line block ×4, first 2 shown]
	v_pk_add_f16 v12, v12, v19
	v_bfi_b32 v19, 0xffff, v22, v21
	v_pk_fma_f16 v25, 0x39e9, v36, v47 op_sel:[0,0,1] op_sel_hi:[0,1,0]
	v_pk_fma_f16 v46, 0x39e9, v36, v47 op_sel:[0,0,1] op_sel_hi:[0,1,0] neg_lo:[0,0,1] neg_hi:[0,0,1]
	v_pk_mul_f16 v47, 0xbb29, v34 op_sel_hi:[0,1]
	v_add_f16_e32 v26, v50, v52
	v_add_f16_e32 v50, v100, v65
	v_pk_add_f16 v12, v12, v20
	v_pk_add_f16 v19, v11, v19
	v_bfi_b32 v20, 0xffff, v25, v46
	v_pk_fma_f16 v51, 0x3722, v39, v47 op_sel:[0,0,1] op_sel_hi:[0,1,0]
	v_pk_fma_f16 v47, 0x3722, v39, v47 op_sel:[0,0,1] op_sel_hi:[0,1,0] neg_lo:[0,0,1] neg_hi:[0,0,1]
	v_pk_mul_f16 v52, 0xbbf7, v37 op_sel_hi:[0,1]
	v_mul_f16_e32 v81, 0x3964, v38
	v_add_f16_e32 v59, v68, v59
	v_mul_f16_e32 v113, 0x3b76, v48
	v_add_f16_e32 v24, v50, v24
	v_pk_add_f16 v12, v12, v17
	v_pk_add_f16 v17, v20, v19
	v_bfi_b32 v19, 0xffff, v51, v47
	v_pk_fma_f16 v20, 0x2de8, v42, v52 op_sel:[0,0,1] op_sel_hi:[0,1,0]
	v_pk_fma_f16 v50, 0x2de8, v42, v52 op_sel:[0,0,1] op_sel_hi:[0,1,0] neg_lo:[0,0,1] neg_hi:[0,0,1]
	v_pk_mul_f16 v52, 0xbbb2, v38 op_sel_hi:[0,1]
	v_mul_f16_e32 v105, 0xb5c8, v40
	v_add_f16_e32 v59, v72, v59
	v_sub_f16_e32 v81, v89, v81
	v_add_f16_e32 v54, v113, v63
	v_pk_add_f16 v12, v12, v18
	v_pk_add_f16 v17, v19, v17
	v_bfi_b32 v18, 0xffff, v20, v50
	v_pk_fma_f16 v19, 0xb461, v44, v52 op_sel:[0,0,1] op_sel_hi:[0,1,0]
	v_pk_fma_f16 v52, 0xb461, v44, v52 op_sel:[0,0,1] op_sel_hi:[0,1,0] neg_lo:[0,0,1] neg_hi:[0,0,1]
	v_pk_mul_f16 v55, 0xba62, v40 op_sel_hi:[0,1]
	v_mul_f16_e32 v68, 0xbbf7, v41
	v_add_f16_e32 v62, v62, v66
	v_add_f16_e32 v59, v81, v59
	v_sub_f16_e32 v66, v91, v105
	v_add_f16_e32 v24, v54, v24
	v_pk_add_f16 v12, v12, v15
	v_pk_add_f16 v15, v18, v17
	v_bfi_b32 v17, 0xffff, v19, v52
	v_pk_fma_f16 v18, 0xb8d2, v45, v55 op_sel:[0,0,1] op_sel_hi:[0,1,0]
	v_pk_fma_f16 v54, 0xb8d2, v45, v55 op_sel:[0,0,1] op_sel_hi:[0,1,0] neg_lo:[0,0,1] neg_hi:[0,0,1]
	v_mul_f16_e32 v72, 0xb836, v43
	v_add_f16_e32 v59, v66, v59
	v_sub_f16_e32 v66, v92, v68
	v_pk_mul_f16 v55, 0xb836, v41 op_sel_hi:[0,1]
	v_pk_add_f16 v12, v12, v16
	v_pk_add_f16 v15, v17, v15
	v_bfi_b32 v17, 0xffff, v18, v54
	v_pk_mul_f16 v35, 0xbbdd, v35 op_sel_hi:[0,1]
	v_add_f16_e32 v53, v66, v59
	v_sub_f16_e32 v59, v94, v72
	v_pk_mul_f16 v16, 0xb1e1, v43 op_sel_hi:[0,1]
	v_pk_add_f16 v12, v12, v13
	v_pk_fma_f16 v13, 0xbacd, v49, v55 op_sel:[0,0,1] op_sel_hi:[0,1,0]
	v_pk_fma_f16 v55, 0xbacd, v49, v55 op_sel:[0,0,1] op_sel_hi:[0,1,0] neg_lo:[0,0,1] neg_hi:[0,0,1]
	v_pk_add_f16 v15, v17, v15
	v_pk_fma_f16 v17, 0xb1e1, v31, v35 op_sel:[0,0,1] op_sel_hi:[0,1,0]
	v_alignbit_b32 v56, s0, v11, 16
	v_pk_mul_f16 v36, 0x3b76, v36 op_sel_hi:[0,1]
	v_fmac_f16_e32 v121, 0x39e9, v39
	v_add_f16_e32 v53, v59, v53
	v_bfi_b32 v58, 0xffff, v13, v55
	v_pk_fma_f16 v59, 0xbbdd, v48, v16 op_sel:[0,0,1] op_sel_hi:[0,1,0]
	v_pk_fma_f16 v16, 0xbbdd, v48, v16 op_sel:[0,0,1] op_sel_hi:[0,1,0] neg_lo:[0,0,1] neg_hi:[0,0,1]
	v_pk_add_f16 v56, v56, v17
	v_pk_fma_f16 v60, 0x35c8, v32, v36 op_sel:[0,0,1] op_sel_hi:[0,1,0]
	v_pk_mul_f16 v39, 0xbacd, v39 op_sel_hi:[0,1]
	v_pk_fma_f16 v31, 0xb1e1, v31, v35 op_sel:[0,0,1] op_sel_hi:[0,1,0] neg_lo:[0,1,0] neg_hi:[0,1,0]
	v_alignbit_b32 v17, s0, v17, 16
	v_fmac_f16_e32 v123, 0x3722, v42
	v_pk_add_f16 v12, v12, v14
	v_pk_add_f16 v14, v58, v15
	v_bfi_b32 v15, 0xffff, v59, v16
	v_pk_add_f16 v56, v60, v56
	v_pk_fma_f16 v58, 0xb836, v34, v39 op_sel:[0,0,1] op_sel_hi:[0,1,0]
	v_pk_mul_f16 v42, 0x39e9, v42 op_sel_hi:[0,1]
	v_pk_add_f16 v31, v11, v31 op_sel:[1,0] op_sel_hi:[0,1]
	v_pk_fma_f16 v32, 0x35c8, v32, v36 op_sel:[0,0,1] op_sel_hi:[0,1,0] neg_lo:[0,1,0] neg_hi:[0,1,0]
	v_pk_add_f16 v17, v11, v17
	v_alignbit_b32 v36, s0, v60, 16
	v_add_f16_e32 v90, v121, v90
	v_bfi_b32 v21, 0xffff, v21, v22
	v_fmac_f16_e32 v124, 0xbbdd, v44
	v_pk_add_f16 v12, v12, v33
	v_pk_add_f16 v14, v15, v14
	;; [unrolled: 1-line block ×3, first 2 shown]
	v_pk_fma_f16 v33, 0x3964, v37, v42 op_sel:[0,0,1] op_sel_hi:[0,1,0]
	v_pk_mul_f16 v44, 0xb8d2, v44 op_sel_hi:[0,1]
	v_pk_add_f16 v31, v32, v31
	v_pk_fma_f16 v32, 0xb836, v34, v39 op_sel:[0,0,1] op_sel_hi:[0,1,0] neg_lo:[0,1,0] neg_hi:[0,1,0]
	v_pk_add_f16 v17, v36, v17
	v_alignbit_b32 v34, s0, v58, 16
	v_add_f16_e32 v90, v123, v90
	v_pk_add_f16 v11, v11, v21
	v_bfi_b32 v21, 0xffff, v46, v25
	v_fmac_f16_e64 v129, 0x2de8, v45
	v_pack_b32_f16 v26, v26, v53
	v_pk_add_f16 v15, v33, v15
	v_pk_fma_f16 v53, 0xba62, v38, v44 op_sel:[0,0,1] op_sel_hi:[0,1,0]
	v_pk_mul_f16 v45, 0x3722, v45 op_sel_hi:[0,1]
	v_pk_add_f16 v31, v32, v31
	v_pk_fma_f16 v32, 0x3964, v37, v42 op_sel:[0,0,1] op_sel_hi:[0,1,0] neg_lo:[0,1,0] neg_hi:[0,1,0]
	v_pk_add_f16 v17, v34, v17
	v_alignbit_b32 v33, s0, v33, 16
	v_add_f16_e32 v90, v124, v90
	v_pk_add_f16 v11, v21, v11
	v_bfi_b32 v21, 0xffff, v47, v51
	v_fmac_f16_e64 v152, 0xbbdd, v49
	v_fmac_f16_e64 v132, 0x3b76, v49
	v_pk_fma_f16 v35, 0x3b29, v40, v45 op_sel:[0,0,1] op_sel_hi:[0,1,0]
	v_pk_mul_f16 v49, 0xb461, v49 op_sel_hi:[0,1]
	v_pk_add_f16 v22, v32, v31
	v_pk_fma_f16 v31, 0xba62, v38, v44 op_sel:[0,0,1] op_sel_hi:[0,1,0] neg_lo:[0,1,0] neg_hi:[0,1,0]
	v_pk_add_f16 v17, v33, v17
	v_alignbit_b32 v32, s0, v53, 16
	v_add_f16_e64 v90, v129, v90
	v_mul_f16_e32 v89, 0x39e9, v48
	v_pk_add_f16 v11, v21, v11
	v_bfi_b32 v20, 0xffff, v50, v20
	v_pk_add_f16 v15, v53, v15
	v_pk_fma_f16 v60, 0xbbb2, v41, v49 op_sel:[0,0,1] op_sel_hi:[0,1,0]
	v_pk_mul_f16 v36, 0x2de8, v48 op_sel_hi:[0,1]
	v_pk_add_f16 v22, v31, v22
	v_pk_fma_f16 v25, 0x3b29, v40, v45 op_sel:[0,0,1] op_sel_hi:[0,1,0] neg_lo:[0,1,0] neg_hi:[0,1,0]
	v_pk_add_f16 v17, v32, v17
	v_alignbit_b32 v31, s0, v35, 16
	v_add_f16_e64 v90, v132, v90
	v_fmac_f16_e64 v137, 0xb8d2, v48
	v_add_f16_e32 v67, v89, v97
	v_add_f16_e64 v134, v149, v147
	v_add_f16_e64 v87, v152, v87
	v_fmac_f16_e64 v140, 0x3722, v48
	v_pk_add_f16 v11, v20, v11
	v_bfi_b32 v19, 0xffff, v52, v19
	v_pk_add_f16 v15, v35, v15
	v_pk_fma_f16 v34, 0x3bf7, v43, v36 op_sel:[0,0,1] op_sel_hi:[0,1,0]
	v_pk_add_f16 v22, v25, v22
	v_pk_fma_f16 v25, 0xbbb2, v41, v49 op_sel:[0,0,1] op_sel_hi:[0,1,0] neg_lo:[0,1,0] neg_hi:[0,1,0]
	v_pk_add_f16 v17, v31, v17
	v_alignbit_b32 v31, s0, v60, 16
	v_add_f16_e64 v139, v156, v139
	v_add_f16_e64 v90, v137, v90
	v_add_f16_e32 v61, v76, v70
	v_add_f16_e32 v57, v67, v62
	v_add_f16_e64 v131, v135, v134
	v_add_f16_e64 v87, v140, v87
	v_lshl_add_u32 v62, v3, 6, v0
	v_pk_add_f16 v11, v19, v11
	v_bfi_b32 v18, 0xffff, v54, v18
	v_pack_b32_f16 v23, v24, v23
	v_pk_add_f16 v15, v60, v15
	v_pk_add_f16 v21, v25, v22
	v_pk_fma_f16 v22, 0x3bf7, v43, v36 op_sel:[0,0,1] op_sel_hi:[0,1,0] neg_lo:[0,1,0] neg_hi:[0,1,0]
	v_pk_add_f16 v17, v31, v17
	v_alignbit_b32 v25, s0, v34, 16
	v_add_f16_e64 v103, v161, v103
	v_add_f16_e64 v139, v154, v139
	v_pack_b32_f16 v24, v57, v61
	v_pack_b32_f16 v56, v90, v80
	;; [unrolled: 1-line block ×4, first 2 shown]
	ds_store_2addr_b32 v62, v12, v14 offset1:1
	ds_store_2addr_b32 v62, v23, v26 offset0:2 offset1:3
	ds_store_2addr_b32 v62, v24, v56 offset0:4 offset1:5
	;; [unrolled: 1-line block ×3, first 2 shown]
	v_pk_add_f16 v11, v18, v11
	v_bfi_b32 v12, 0xffff, v55, v13
	v_pk_add_f16 v15, v34, v15
	v_pk_add_f16 v21, v22, v21
	;; [unrolled: 1-line block ×3, first 2 shown]
	v_add_f16_e64 v103, v159, v103
	v_add_f16_e64 v108, v153, v139
	v_pk_add_f16 v11, v12, v11
	v_bfi_b32 v12, 0xffff, v16, v59
	v_alignbit_b32 v13, v15, v21, 16
	v_pack_b32_f16 v14, v17, v21
	v_pack_b32_f16 v15, v98, v93
	;; [unrolled: 1-line block ×4, first 2 shown]
	v_perm_b32 v18, v27, v10, 0x5040100
	v_perm_b32 v19, v4, v8, 0x5040100
	;; [unrolled: 1-line block ×3, first 2 shown]
	v_pk_add_f16 v11, v12, v11
	ds_store_2addr_b32 v62, v14, v13 offset0:8 offset1:9
	ds_store_2addr_b32 v62, v17, v15 offset0:10 offset1:11
	;; [unrolled: 1-line block ×4, first 2 shown]
	ds_store_b32 v62, v11 offset:64
.LBB0_15:
	s_wait_alu 0xfffe
	s_or_b32 exec_lo, exec_lo, s1
	v_and_b32_e32 v11, 0xff, v3
	s_load_b64 s[2:3], s[2:3], 0x0
	global_wb scope:SCOPE_SE
	s_wait_dscnt 0x0
	s_wait_kmcnt 0x0
	s_barrier_signal -1
	s_barrier_wait -1
	v_mul_lo_u16 v11, 0xf1, v11
	global_inv scope:SCOPE_SE
	v_add_nc_u32_e32 v13, 0x400, v0
	v_cmp_gt_u32_e64 s0, 0x55, v3
	v_lshrrev_b16 v16, 12, v11
	s_delay_alu instid0(VALU_DEP_1) | instskip(SKIP_1) | instid1(VALU_DEP_2)
	v_mul_lo_u16 v11, v16, 17
	v_and_b32_e32 v16, 0xffff, v16
	v_sub_nc_u16 v11, v3, v11
	s_delay_alu instid0(VALU_DEP_2) | instskip(NEXT) | instid1(VALU_DEP_2)
	v_mul_u32_u24_e32 v16, 0x374, v16
	v_and_b32_e32 v15, 0xff, v11
	s_delay_alu instid0(VALU_DEP_1) | instskip(SKIP_1) | instid1(VALU_DEP_2)
	v_mul_u32_u24_e32 v11, 12, v15
	v_lshlrev_b32_e32 v15, 2, v15
	v_lshlrev_b32_e32 v11, 2, v11
	s_delay_alu instid0(VALU_DEP_2)
	v_add3_u32 v15, 0, v16, v15
	s_clause 0x2
	global_load_b128 v[22:25], v11, s[8:9]
	global_load_b128 v[34:37], v11, s[8:9] offset:16
	global_load_b128 v[38:41], v11, s[8:9] offset:32
	ds_load_2addr_b32 v[42:43], v29 offset0:32 offset1:168
	ds_load_2addr_b32 v[44:45], v30 offset0:48 offset1:184
	ds_load_2addr_b32 v[11:12], v0 offset1:136
	ds_load_2addr_b32 v[46:47], v9 offset0:64 offset1:200
	v_add_nc_u32_e32 v9, 0x1400, v0
	ds_load_b32 v50, v0 offset:6528
	ds_load_2addr_b32 v[48:49], v9 offset0:80 offset1:216
	ds_load_2addr_b32 v[32:33], v13 offset0:16 offset1:152
	global_wb scope:SCOPE_SE
	s_wait_loadcnt_dscnt 0x0
	s_barrier_signal -1
	s_barrier_wait -1
	global_inv scope:SCOPE_SE
	v_lshrrev_b32_e32 v14, 16, v43
	v_lshrrev_b32_e32 v26, 16, v44
	;; [unrolled: 1-line block ×18, first 2 shown]
	v_mul_f16_e32 v66, v9, v55
	v_mul_f16_e32 v67, v9, v12
	v_lshrrev_b32_e32 v65, 16, v41
	v_mul_f16_e32 v68, v13, v59
	v_mul_f16_e32 v69, v13, v32
	;; [unrolled: 1-line block ×6, first 2 shown]
	v_fmac_f16_e32 v66, v22, v12
	v_fma_f16 v55, v22, v55, -v67
	v_lshrrev_b32_e32 v18, 16, v25
	v_lshrrev_b32_e32 v21, 16, v36
	;; [unrolled: 1-line block ×6, first 2 shown]
	v_mul_f16_e32 v70, v17, v60
	v_mul_f16_e32 v71, v17, v33
	;; [unrolled: 1-line block ×4, first 2 shown]
	v_fmac_f16_e32 v68, v23, v32
	v_fma_f16 v59, v23, v59, -v69
	v_fmac_f16_e32 v30, v43, v34
	v_fma_f16 v32, v14, v34, -v73
	;; [unrolled: 2-line block ×3, first 2 shown]
	v_add_f16_e32 v34, v66, v11
	v_add_f16_e32 v35, v55, v29
	v_mul_f16_e32 v31, v18, v56
	v_mul_f16_e32 v72, v18, v42
	v_mul_f16_e32 v13, v51, v21
	v_mul_f16_e32 v75, v45, v21
	v_mul_f16_e32 v21, v52, v61
	v_mul_f16_e32 v61, v46, v61
	v_mul_f16_e32 v20, v53, v62
	v_mul_f16_e32 v62, v47, v62
	v_mul_f16_e32 v19, v57, v63
	v_mul_f16_e32 v63, v48, v63
	v_mul_f16_e32 v18, v58, v64
	v_mul_f16_e32 v64, v49, v64
	v_fmac_f16_e32 v70, v24, v33
	v_fma_f16 v60, v24, v60, -v71
	v_fma_f16 v22, v54, v41, -v65
	v_add_f16_e32 v34, v34, v68
	v_add_f16_e32 v35, v35, v59
	v_fmac_f16_e32 v31, v25, v42
	v_fma_f16 v33, v25, v56, -v72
	v_fmac_f16_e32 v21, v46, v37
	v_fma_f16 v26, v52, v37, -v61
	v_fmac_f16_e32 v20, v47, v38
	v_fma_f16 v25, v53, v38, -v62
	v_fmac_f16_e32 v19, v48, v39
	v_fma_f16 v24, v57, v39, -v63
	v_fmac_f16_e32 v17, v50, v41
	v_fma_f16 v23, v58, v40, -v64
	v_add_f16_e32 v37, v55, v22
	v_sub_f16_e32 v39, v55, v22
	v_add_f16_e32 v34, v34, v70
	v_add_f16_e32 v35, v35, v60
	v_fmac_f16_e32 v13, v45, v36
	v_fma_f16 v14, v51, v36, -v75
	v_fmac_f16_e32 v18, v49, v40
	v_add_f16_e32 v36, v66, v17
	v_sub_f16_e32 v38, v66, v17
	v_add_f16_e32 v41, v59, v23
	v_sub_f16_e32 v43, v59, v23
	v_add_f16_e32 v48, v31, v20
	v_add_f16_e32 v49, v33, v25
	v_sub_f16_e32 v50, v31, v20
	v_sub_f16_e32 v51, v33, v25
	v_mul_f16_e32 v56, 0xb770, v39
	v_mul_f16_e32 v57, 0x3b15, v37
	;; [unrolled: 1-line block ×7, first 2 shown]
	v_add_f16_e32 v31, v34, v31
	v_add_f16_e32 v33, v35, v33
	;; [unrolled: 1-line block ×3, first 2 shown]
	v_sub_f16_e32 v42, v68, v18
	v_add_f16_e32 v44, v70, v19
	v_add_f16_e32 v45, v60, v24
	v_sub_f16_e32 v46, v70, v19
	v_sub_f16_e32 v47, v60, v24
	v_add_f16_e32 v52, v30, v21
	v_sub_f16_e32 v54, v30, v21
	v_mul_f16_e32 v63, 0xbb7b, v39
	v_mul_f16_e32 v65, 0xb94e, v39
	;; [unrolled: 1-line block ×11, first 2 shown]
	v_fmamk_f16 v60, v36, 0x3b15, v56
	v_fmamk_f16 v70, v38, 0x3770, v57
	v_fma_f16 v56, v36, 0x3b15, -v56
	v_fmac_f16_e32 v57, 0xb770, v38
	v_fmamk_f16 v108, v36, 0x388b, v58
	v_fmamk_f16 v109, v38, 0x3a95, v59
	v_fma_f16 v58, v36, 0x388b, -v58
	v_fmamk_f16 v110, v36, 0x2fb7, v61
	v_fmamk_f16 v111, v38, 0x3bf1, v62
	v_fma_f16 v61, v36, 0x2fb7, -v61
	v_fmamk_f16 v113, v38, 0x3b7b, v64
	v_add_f16_e32 v30, v31, v30
	v_add_f16_e32 v31, v33, v32
	v_mul_f16_e32 v71, 0xb5ac, v41
	v_mul_f16_e32 v74, 0x394e, v43
	;; [unrolled: 1-line block ×11, first 2 shown]
	v_fmac_f16_e32 v59, 0xba95, v38
	v_fmac_f16_e32 v62, 0xbbf1, v38
	v_fmamk_f16 v112, v36, 0xb5ac, v63
	v_fma_f16 v63, v36, 0xb5ac, -v63
	v_fmac_f16_e32 v64, 0xbb7b, v38
	v_fmamk_f16 v114, v36, 0xb9fd, v65
	v_fmamk_f16 v115, v38, 0x394e, v66
	v_fma_f16 v65, v36, 0xb9fd, -v65
	v_fmac_f16_e32 v66, 0xb94e, v38
	v_fmamk_f16 v116, v36, 0xbbc4, v39
	;; [unrolled: 4-line block ×4, first 2 shown]
	v_fma_f16 v69, v40, 0xb5ac, -v69
	v_fmamk_f16 v120, v40, 0xbbc4, v72
	v_fmamk_f16 v121, v42, 0x33a8, v73
	v_fma_f16 v72, v40, 0xbbc4, -v72
	v_fmamk_f16 v123, v42, 0xb94e, v75
	v_add_f16_e32 v34, v60, v11
	v_add_f16_e32 v35, v70, v29
	;; [unrolled: 1-line block ×14, first 2 shown]
	v_sub_f16_e32 v55, v32, v26
	v_mul_f16_e32 v79, 0x2fb7, v45
	v_mul_f16_e32 v81, 0xbbc4, v45
	;; [unrolled: 1-line block ×8, first 2 shown]
	v_fmamk_f16 v119, v42, 0x3b7b, v71
	v_fmac_f16_e32 v71, 0xbb7b, v42
	v_fmac_f16_e32 v73, 0xb3a8, v42
	v_fmamk_f16 v122, v40, 0xb9fd, v74
	v_fma_f16 v74, v40, 0xb9fd, -v74
	v_fmac_f16_e32 v75, 0x394e, v42
	v_fmamk_f16 v124, v40, 0x2fb7, v76
	v_fmamk_f16 v125, v42, 0xbbf1, v77
	v_fma_f16 v76, v40, 0x2fb7, -v76
	v_fmac_f16_e32 v77, 0x3bf1, v42
	v_fmamk_f16 v126, v40, 0x3b15, v43
	;; [unrolled: 4-line block ×3, first 2 shown]
	v_fma_f16 v78, v44, 0x2fb7, -v78
	v_fma_f16 v128, 0xbbc4, v44, v80
	v_fma_f16 v80, v44, 0xbbc4, -v80
	v_fma_f16 v130, 0xb5ac, v44, v82
	v_fma_f16 v131, 0xbb7b, v46, v83
	;; [unrolled: 1-line block ×3, first 2 shown]
	v_add_f16_e32 v59, v59, v29
	v_add_f16_e32 v62, v62, v29
	v_add_f16_e32 v110, v112, v11
	v_add_f16_e32 v63, v63, v11
	v_add_f16_e32 v64, v64, v29
	v_add_f16_e32 v112, v114, v11
	v_add_f16_e32 v113, v115, v29
	v_add_f16_e32 v65, v65, v11
	v_add_f16_e32 v66, v66, v29
	v_add_f16_e32 v114, v116, v11
	v_add_f16_e32 v115, v117, v29
	v_add_f16_e32 v11, v36, v11
	v_add_f16_e32 v29, v37, v29
	v_add_f16_e32 v32, v38, v34
	v_add_f16_e32 v33, v39, v35
	v_add_f16_e32 v34, v67, v56
	v_add_f16_e32 v35, v68, v57
	v_add_f16_e32 v36, v118, v60
	v_add_f16_e32 v38, v69, v58
	v_add_f16_e32 v56, v120, v108
	v_add_f16_e32 v57, v121, v109
	v_add_f16_e32 v58, v72, v61
	v_add_f16_e32 v61, v123, v111
	v_add_f16_e32 v30, v30, v13
	v_add_f16_e32 v31, v31, v14
	v_mul_f16_e32 v84, 0x3770, v47
	v_mul_f16_e32 v86, 0xba95, v47
	;; [unrolled: 1-line block ×12, first 2 shown]
	v_fmamk_f16 v43, v46, 0x3bf1, v79
	v_fmac_f16_e32 v79, 0xbbf1, v46
	v_fma_f16 v129, 0x33a8, v46, v81
	v_fmac_f16_e32 v81, 0xb3a8, v46
	v_fmac_f16_e32 v83, 0x3b7b, v46
	;; [unrolled: 1-line block ×3, first 2 shown]
	v_fma_f16 v135, 0x3a95, v46, v87
	v_fmac_f16_e32 v87, 0xba95, v46
	v_fma_f16 v137, 0x394e, v46, v45
	v_fmac_f16_e32 v45, 0xb94e, v46
	v_fmamk_f16 v46, v48, 0xb5ac, v88
	v_fma_f16 v88, v48, 0xb5ac, -v88
	v_fma_f16 v138, 0xb9fd, v48, v90
	v_fma_f16 v90, v48, 0xb9fd, -v90
	v_fma_f16 v140, 0x3b15, v48, v92
	v_fma_f16 v143, 0x3bf1, v50, v95
	v_add_f16_e32 v39, v71, v59
	v_add_f16_e32 v59, v73, v62
	;; [unrolled: 1-line block ×8, first 2 shown]
	v_add_f16_e64 v36, v128, v36
	v_add_f16_e32 v38, v80, v38
	v_add_f16_e64 v40, v130, v56
	v_add_f16_e64 v41, v131, v57
	;; [unrolled: 1-line block ×3, first 2 shown]
	v_add_f16_e32 v21, v30, v21
	v_add_f16_e32 v26, v31, v26
	v_mul_f16_e32 v94, 0xbbf1, v51
	v_mul_f16_e32 v96, 0x33a8, v51
	;; [unrolled: 1-line block ×3, first 2 shown]
	v_fma_f16 v82, v44, 0xb5ac, -v82
	v_fma_f16 v132, 0x3b15, v44, v84
	v_fma_f16 v84, v44, 0x3b15, -v84
	v_fma_f16 v134, 0x388b, v44, v86
	;; [unrolled: 2-line block ×3, first 2 shown]
	v_fma_f16 v44, v44, 0xb9fd, -v47
	v_fmamk_f16 v47, v50, 0x3b7b, v89
	v_fmac_f16_e32 v89, 0xbb7b, v50
	v_fma_f16 v139, 0xb94e, v50, v91
	v_fmac_f16_e32 v91, 0x394e, v50
	v_fma_f16 v141, 0xb770, v50, v93
	v_fmac_f16_e32 v93, 0x3770, v50
	v_fmac_f16_e32 v95, 0xbbf1, v50
	v_fma_f16 v145, 0xb3a8, v50, v97
	v_fmac_f16_e32 v97, 0x33a8, v50
	v_fma_f16 v147, 0xba95, v50, v49
	v_fmac_f16_e32 v49, 0x3a95, v50
	v_fmamk_f16 v50, v52, 0xb9fd, v98
	v_fma_f16 v98, v52, 0xb9fd, -v98
	v_fma_f16 v148, 0x2fb7, v52, v100
	v_fma_f16 v100, v52, 0x2fb7, -v100
	v_fma_f16 v150, 0x388b, v52, v102
	v_fma_f16 v153, 0xb3a8, v54, v105
	v_add_f16_e32 v33, v43, v33
	v_add_f16_e32 v43, v83, v59
	v_add_f16_e32 v59, v85, v63
	v_add_f16_e32 v29, v45, v29
	v_add_f16_e32 v32, v46, v32
	v_add_f16_e32 v34, v88, v34
	v_add_f16_e64 v36, v138, v36
	v_add_f16_e32 v38, v90, v38
	v_add_f16_e64 v40, v140, v40
	v_add_f16_e64 v45, v143, v57
	v_add_f16_e32 v20, v21, v20
	v_add_f16_e32 v21, v26, v25
	v_mul_f16_e32 v99, 0xb9fd, v53
	v_mul_f16_e32 v104, 0x33a8, v55
	;; [unrolled: 1-line block ×4, first 2 shown]
	v_fma_f16 v92, v48, 0x3b15, -v92
	v_fma_f16 v142, 0x2fb7, v48, v94
	v_fma_f16 v94, v48, 0x2fb7, -v94
	v_fma_f16 v144, 0xbbc4, v48, v96
	;; [unrolled: 2-line block ×3, first 2 shown]
	v_fma_f16 v48, v48, 0x388b, -v51
	v_fmac_f16_e32 v105, 0x33a8, v54
	v_add_f16_e32 v11, v44, v11
	v_add_f16_e32 v33, v47, v33
	;; [unrolled: 1-line block ×5, first 2 shown]
	v_add_f16_e64 v34, v148, v36
	v_add_f16_e32 v36, v100, v38
	v_add_f16_e64 v38, v150, v40
	v_add_f16_e32 v19, v20, v19
	v_add_f16_e32 v20, v21, v24
	v_add_f16_e64 v40, v153, v45
	v_sub_f16_e32 v45, v12, v14
	v_fmamk_f16 v51, v54, 0x394e, v99
	v_add_f16_e32 v37, v119, v70
	v_add_f16_e32 v67, v125, v113
	;; [unrolled: 1-line block ×10, first 2 shown]
	v_mul_f16_e32 v24, 0xb3a8, v45
	v_add_f16_e32 v48, v12, v14
	v_fma_f16 v12, v52, 0xb5ac, -v55
	v_mul_f16_e32 v101, 0x2fb7, v53
	v_fmac_f16_e32 v99, 0xb94e, v54
	v_add_f16_e64 v37, v129, v37
	v_add_f16_e32 v39, v81, v39
	v_add_f16_e32 v42, v82, v58
	;; [unrolled: 1-line block ×3, first 2 shown]
	v_add_f16_e64 v61, v135, v67
	v_add_f16_e32 v62, v86, v65
	v_add_f16_e64 v65, v137, v69
	v_add_f16_e32 v35, v89, v35
	v_add_f16_e32 v29, v49, v29
	;; [unrolled: 1-line block ×5, first 2 shown]
	v_mul_f16_e32 v22, 0xb5ac, v53
	v_sub_f16_e32 v49, v9, v13
	v_fmamk_f16 v9, v47, 0xbbc4, v24
	v_mul_f16_e32 v13, 0xbbc4, v48
	v_add_f16_e32 v51, v12, v11
	v_mul_f16_e32 v11, 0x3770, v45
	v_mul_f16_e32 v103, 0x388b, v53
	v_fma_f16 v149, 0xbbf1, v54, v101
	v_fmac_f16_e32 v101, 0x3bf1, v54
	v_add_f16_e32 v60, v122, v110
	v_add_f16_e64 v37, v139, v37
	v_add_f16_e32 v39, v91, v39
	v_add_f16_e64 v57, v145, v61
	v_add_f16_e64 v61, v147, v65
	v_add_f16_e32 v33, v99, v35
	v_fmamk_f16 v23, v54, 0x3b7b, v22
	v_add_f16_e32 v30, v9, v30
	v_fmamk_f16 v9, v49, 0x33a8, v13
	v_fma_f16 v12, v47, 0xbbc4, -v24
	v_fmac_f16_e32 v13, 0xb3a8, v49
	v_mul_f16_e32 v14, 0x3b15, v48
	v_fmamk_f16 v24, v47, 0x3b15, v11
	v_fma_f16 v151, 0x3a95, v54, v103
	v_fma_f16 v102, v52, 0x388b, -v102
	v_fmac_f16_e32 v103, 0xba95, v54
	v_add_f16_e32 v64, v124, v112
	v_add_f16_e32 v66, v77, v66
	v_add_f16_e64 v56, v132, v60
	v_add_f16_e64 v41, v141, v41
	v_add_f16_e32 v42, v92, v42
	v_add_f16_e32 v43, v93, v43
	v_add_f16_e64 v35, v149, v37
	v_add_f16_e32 v37, v101, v39
	v_fmac_f16_e32 v22, 0xbb7b, v54
	v_add_f16_e32 v50, v23, v61
	v_add_f16_e32 v31, v9, v31
	;; [unrolled: 1-line block ×4, first 2 shown]
	v_fmamk_f16 v12, v49, 0xb770, v14
	v_mul_f16_e32 v13, 0xb94e, v45
	v_add_f16_e32 v32, v24, v34
	v_fma_f16 v11, v47, 0x3b15, -v11
	v_fmac_f16_e32 v14, 0x3770, v49
	v_mul_f16_e32 v34, 0xb9fd, v48
	v_mul_f16_e32 v107, 0x3b15, v53
	v_fma_f16 v152, 0xbbc4, v52, v104
	v_fma_f16 v104, v52, 0xbbc4, -v104
	v_add_f16_e32 v68, v126, v114
	v_add_f16_e64 v60, v134, v64
	v_add_f16_e32 v63, v87, v66
	v_add_f16_e64 v44, v142, v56
	;; [unrolled: 2-line block ×3, first 2 shown]
	v_add_f16_e32 v26, v102, v42
	v_add_f16_e32 v39, v103, v43
	;; [unrolled: 1-line block ×4, first 2 shown]
	v_fmamk_f16 v29, v47, 0xb9fd, v13
	v_add_f16_e32 v12, v11, v36
	v_add_f16_e32 v24, v14, v37
	v_mul_f16_e32 v14, 0x3a95, v45
	v_fmamk_f16 v11, v49, 0x394e, v34
	v_fma_f16 v13, v47, 0xb9fd, -v13
	v_fmac_f16_e32 v34, 0xb94e, v49
	v_mul_f16_e32 v36, 0x388b, v48
	v_fma_f16 v154, 0x3b15, v52, v106
	v_fma_f16 v155, 0xb770, v54, v107
	v_fmac_f16_e32 v107, 0x3770, v54
	v_add_f16_e64 v64, v136, v68
	v_add_f16_e64 v56, v144, v60
	v_add_f16_e32 v59, v97, v63
	v_add_f16_e64 v21, v152, v44
	v_add_f16_e32 v41, v104, v46
	v_add_f16_e32 v35, v29, v38
	v_fmamk_f16 v29, v47, 0x388b, v14
	v_add_f16_e32 v37, v11, v25
	v_add_f16_e32 v11, v13, v26
	;; [unrolled: 1-line block ×3, first 2 shown]
	v_fmamk_f16 v13, v49, 0xba95, v36
	v_mul_f16_e32 v26, 0xbb7b, v45
	v_fma_f16 v14, v47, 0x388b, -v14
	v_fmac_f16_e32 v36, 0x3a95, v49
	v_mul_f16_e32 v34, 0xb5ac, v48
	v_add_f16_e64 v60, v146, v64
	v_add_f16_e64 v42, v154, v56
	v_fmamk_f16 v19, v52, 0xb5ac, v55
	v_add_f16_e32 v46, v107, v59
	v_add_f16_e32 v21, v29, v21
	;; [unrolled: 1-line block ×3, first 2 shown]
	v_fmamk_f16 v13, v47, 0xb5ac, v26
	v_add_f16_e32 v14, v14, v41
	v_add_f16_e32 v29, v36, v20
	v_fmamk_f16 v20, v49, 0x3b7b, v34
	v_mul_f16_e32 v36, 0x3bf1, v45
	v_fmac_f16_e32 v34, 0xbb7b, v49
	v_mul_f16_e32 v41, 0x2fb7, v48
	v_fma_f16 v106, v52, 0x3b15, -v106
	v_add_f16_e32 v58, v96, v62
	v_add_f16_e64 v43, v155, v57
	v_add_f16_e32 v19, v19, v60
	v_add_f16_e32 v39, v13, v42
	v_fma_f16 v13, v47, 0xb5ac, -v26
	v_fmamk_f16 v40, v47, 0x2fb7, v36
	v_add_f16_e32 v26, v34, v46
	v_fmamk_f16 v34, v49, 0xbbf1, v41
	v_fma_f16 v36, v47, 0x2fb7, -v36
	v_fmac_f16_e32 v41, 0x3bf1, v49
	v_add_f16_e32 v44, v106, v58
	v_add_f16_e32 v20, v20, v43
	v_pack_b32_f16 v16, v17, v18
	v_pack_b32_f16 v17, v30, v31
	v_add_f16_e32 v19, v40, v19
	v_add_f16_e32 v34, v34, v50
	;; [unrolled: 1-line block ×4, first 2 shown]
	v_pack_b32_f16 v18, v32, v33
	v_pack_b32_f16 v30, v35, v37
	v_add_f16_e32 v13, v13, v44
	ds_store_2addr_b32 v15, v16, v17 offset1:17
	ds_store_2addr_b32 v15, v18, v30 offset0:34 offset1:51
	v_pack_b32_f16 v16, v21, v38
	v_pack_b32_f16 v17, v39, v20
	;; [unrolled: 1-line block ×9, first 2 shown]
	ds_store_2addr_b32 v15, v16, v17 offset0:68 offset1:85
	ds_store_2addr_b32 v15, v18, v19 offset0:102 offset1:119
	;; [unrolled: 1-line block ×4, first 2 shown]
	ds_store_b32 v15, v31 offset:816
	v_add_nc_u32_e32 v30, 0x680, v0
	v_add_nc_u32_e32 v31, 0xd80, v0
	;; [unrolled: 1-line block ×3, first 2 shown]
	global_wb scope:SCOPE_SE
	s_wait_dscnt 0x0
	s_barrier_signal -1
	s_barrier_wait -1
	global_inv scope:SCOPE_SE
	ds_load_2addr_b32 v[15:16], v0 offset1:221
	ds_load_2addr_b32 v[21:22], v30 offset0:26 offset1:247
	ds_load_2addr_b32 v[19:20], v31 offset0:20 offset1:241
	;; [unrolled: 1-line block ×3, first 2 shown]
	s_and_saveexec_b32 s1, s0
	s_cbranch_execz .LBB0_17
; %bb.16:
	v_add_nc_u32_e32 v4, 0x200, v0
	v_add_nc_u32_e32 v7, 0x900, v0
	;; [unrolled: 1-line block ×4, first 2 shown]
	ds_load_2addr_b32 v[13:14], v4 offset0:8 offset1:229
	ds_load_2addr_b32 v[11:12], v7 offset0:2 offset1:223
	;; [unrolled: 1-line block ×4, first 2 shown]
	s_wait_dscnt 0x3
	v_lshrrev_b32_e32 v26, 16, v13
	s_wait_dscnt 0x2
	v_lshrrev_b32_e32 v25, 16, v11
	v_lshrrev_b32_e32 v24, 16, v12
	s_wait_dscnt 0x1
	v_lshrrev_b32_e32 v23, 16, v9
	v_lshrrev_b32_e32 v27, 16, v10
	s_wait_dscnt 0x0
	v_lshrrev_b32_e32 v28, 16, v7
	v_lshrrev_b32_e32 v4, 16, v8
	v_lshrrev_b32_e32 v29, 16, v14
.LBB0_17:
	s_wait_alu 0xfffe
	s_or_b32 exec_lo, exec_lo, s1
	v_mul_u32_u24_e32 v33, 7, v3
	s_wait_dscnt 0x0
	v_lshrrev_b32_e32 v41, 16, v18
	v_lshrrev_b32_e32 v42, 16, v17
	;; [unrolled: 1-line block ×4, first 2 shown]
	v_lshlrev_b32_e32 v37, 2, v33
	v_lshrrev_b32_e32 v45, 16, v22
	v_lshrrev_b32_e32 v46, 16, v21
	;; [unrolled: 1-line block ×4, first 2 shown]
	s_clause 0x1
	global_load_b128 v[33:36], v37, s[8:9] offset:816
	global_load_b96 v[37:39], v37, s[8:9] offset:832
	global_wb scope:SCOPE_SE
	s_wait_loadcnt 0x0
	s_barrier_signal -1
	s_barrier_wait -1
	global_inv scope:SCOPE_SE
	v_lshrrev_b32_e32 v48, 16, v33
	v_lshrrev_b32_e32 v49, 16, v34
	;; [unrolled: 1-line block ×7, first 2 shown]
	v_mul_f16_e32 v55, v48, v47
	v_mul_f16_e32 v48, v48, v16
	;; [unrolled: 1-line block ×14, first 2 shown]
	v_fmac_f16_e32 v55, v33, v16
	v_fma_f16 v16, v33, v47, -v48
	v_fmac_f16_e32 v56, v34, v21
	v_fma_f16 v21, v34, v46, -v49
	;; [unrolled: 2-line block ×7, first 2 shown]
	v_sub_f16_e32 v33, v15, v58
	v_sub_f16_e32 v19, v40, v19
	;; [unrolled: 1-line block ×8, first 2 shown]
	v_fma_f16 v15, v15, 2.0, -v33
	v_fma_f16 v37, v40, 2.0, -v19
	;; [unrolled: 1-line block ×8, first 2 shown]
	v_add_f16_e32 v17, v33, v17
	v_sub_f16_e32 v34, v19, v34
	v_add_f16_e32 v18, v35, v18
	v_sub_f16_e32 v36, v20, v36
	v_sub_f16_e32 v38, v15, v38
	;; [unrolled: 1-line block ×3, first 2 shown]
	v_fma_f16 v33, v33, 2.0, -v17
	v_fma_f16 v19, v19, 2.0, -v34
	v_sub_f16_e32 v40, v39, v40
	v_sub_f16_e32 v22, v16, v22
	v_fma_f16 v35, v35, 2.0, -v18
	v_fma_f16 v20, v20, 2.0, -v36
	v_fmamk_f16 v41, v18, 0x39a8, v17
	v_fmamk_f16 v42, v36, 0x39a8, v34
	v_fma_f16 v15, v15, 2.0, -v38
	v_fma_f16 v37, v37, 2.0, -v21
	;; [unrolled: 1-line block ×4, first 2 shown]
	v_fmamk_f16 v43, v35, 0xb9a8, v33
	v_fmamk_f16 v44, v20, 0xb9a8, v19
	v_add_f16_e32 v22, v38, v22
	v_sub_f16_e32 v40, v21, v40
	v_fmac_f16_e32 v41, 0x39a8, v36
	v_fmac_f16_e32 v42, 0xb9a8, v18
	v_sub_f16_e32 v18, v15, v39
	v_sub_f16_e32 v16, v37, v16
	v_fmac_f16_e32 v43, 0x39a8, v20
	v_fmac_f16_e32 v44, 0xb9a8, v35
	v_fma_f16 v20, v38, 2.0, -v22
	v_fma_f16 v21, v21, 2.0, -v40
	;; [unrolled: 1-line block ×8, first 2 shown]
	v_pack_b32_f16 v20, v20, v21
	v_pack_b32_f16 v17, v17, v34
	;; [unrolled: 1-line block ×8, first 2 shown]
	ds_store_2addr_b32 v30, v20, v17 offset0:26 offset1:247
	ds_store_2addr_b32 v31, v16, v18 offset0:20 offset1:241
	ds_store_2addr_b32 v0, v15, v19 offset1:221
	ds_store_2addr_b32 v32, v22, v21 offset0:14 offset1:235
	s_and_saveexec_b32 s1, s0
	s_cbranch_execz .LBB0_19
; %bb.18:
	v_add_nc_u32_e32 v15, 0x88, v3
	v_add_nc_u32_e32 v16, 0xffffffab, v3
	;; [unrolled: 1-line block ×5, first 2 shown]
	s_delay_alu instid0(VALU_DEP_4) | instskip(SKIP_1) | instid1(VALU_DEP_2)
	v_cndmask_b32_e64 v15, v16, v15, s0
	v_mov_b32_e32 v16, 0
	v_mul_i32_i24_e32 v15, 7, v15
	s_delay_alu instid0(VALU_DEP_1) | instskip(NEXT) | instid1(VALU_DEP_1)
	v_lshlrev_b64_e32 v[15:16], 2, v[15:16]
	v_add_co_u32 v19, s0, s8, v15
	s_wait_alu 0xf1ff
	s_delay_alu instid0(VALU_DEP_2)
	v_add_co_ci_u32_e64 v20, s0, s9, v16, s0
	s_clause 0x1
	global_load_b128 v[15:18], v[19:20], off offset:816
	global_load_b96 v[19:21], v[19:20], off offset:832
	s_wait_loadcnt 0x1
	v_lshrrev_b32_e32 v32, 16, v15
	v_lshrrev_b32_e32 v33, 16, v16
	;; [unrolled: 1-line block ×4, first 2 shown]
	s_wait_loadcnt 0x0
	v_lshrrev_b32_e32 v36, 16, v20
	v_lshrrev_b32_e32 v37, 16, v19
	;; [unrolled: 1-line block ×3, first 2 shown]
	v_mul_f16_e32 v39, v23, v34
	v_mul_f16_e32 v40, v11, v33
	;; [unrolled: 1-line block ×14, first 2 shown]
	v_fmac_f16_e32 v39, v9, v18
	v_fma_f16 v9, v25, v16, -v40
	v_fma_f16 v25, v28, v20, -v41
	;; [unrolled: 1-line block ×4, first 2 shown]
	v_fmac_f16_e32 v44, v12, v17
	v_fmac_f16_e32 v45, v8, v21
	;; [unrolled: 1-line block ×4, first 2 shown]
	v_fma_f16 v8, v24, v17, -v35
	v_fma_f16 v4, v4, v21, -v38
	;; [unrolled: 1-line block ×3, first 2 shown]
	v_fmac_f16_e32 v33, v11, v16
	v_fmac_f16_e32 v36, v7, v20
	v_sub_f16_e32 v7, v13, v39
	v_sub_f16_e32 v11, v9, v25
	;; [unrolled: 1-line block ×8, first 2 shown]
	v_add_f16_e32 v18, v7, v11
	v_sub_f16_e32 v19, v12, v14
	v_add_f16_e32 v20, v15, v4
	v_fma_f16 v13, v13, 2.0, -v7
	v_sub_f16_e32 v21, v10, v16
	v_fma_f16 v16, v33, 2.0, -v16
	v_fma_f16 v23, v28, 2.0, -v12
	;; [unrolled: 1-line block ×7, first 2 shown]
	v_fmamk_f16 v24, v20, 0x39a8, v18
	v_sub_f16_e32 v16, v13, v16
	v_sub_f16_e32 v4, v23, v4
	;; [unrolled: 1-line block ×4, first 2 shown]
	v_fma_f16 v7, v7, 2.0, -v18
	v_fma_f16 v12, v12, 2.0, -v19
	v_fma_f16 v15, v15, 2.0, -v20
	v_fma_f16 v10, v10, 2.0, -v21
	v_fmamk_f16 v25, v19, 0x39a8, v21
	v_fmac_f16_e32 v24, 0x39a8, v19
	v_add_f16_e32 v19, v16, v4
	v_fmamk_f16 v26, v15, 0xb9a8, v7
	v_fmamk_f16 v27, v12, 0xb9a8, v10
	v_fma_f16 v13, v13, 2.0, -v16
	v_fma_f16 v11, v11, 2.0, -v14
	;; [unrolled: 1-line block ×4, first 2 shown]
	v_fmac_f16_e32 v25, 0xb9a8, v20
	v_sub_f16_e32 v20, v9, v14
	v_fmac_f16_e32 v26, 0x39a8, v12
	v_fmac_f16_e32 v27, 0xb9a8, v15
	v_sub_f16_e32 v11, v13, v11
	v_sub_f16_e32 v4, v8, v4
	v_fma_f16 v14, v18, 2.0, -v24
	v_fma_f16 v18, v21, 2.0, -v25
	;; [unrolled: 1-line block ×8, first 2 shown]
	v_pack_b32_f16 v9, v12, v9
	v_pack_b32_f16 v12, v14, v18
	;; [unrolled: 1-line block ×6, first 2 shown]
	v_add_nc_u32_e32 v17, 0x1680, v0
	v_pack_b32_f16 v15, v19, v20
	v_pack_b32_f16 v10, v24, v25
	ds_store_2addr_b32 v30, v9, v12 offset0:2 offset1:223
	ds_store_2addr_b32 v31, v4, v11 offset0:28 offset1:249
	;; [unrolled: 1-line block ×4, first 2 shown]
.LBB0_19:
	s_wait_alu 0xfffe
	s_or_b32 exec_lo, exec_lo, s1
	global_wb scope:SCOPE_SE
	s_wait_dscnt 0x0
	s_barrier_signal -1
	s_barrier_wait -1
	global_inv scope:SCOPE_SE
	ds_load_b32 v13, v0
	v_lshlrev_b32_e32 v4, 2, v3
	s_mov_b32 s1, exec_lo
                                        ; implicit-def: $vgpr12
                                        ; implicit-def: $vgpr11
                                        ; implicit-def: $vgpr10
                                        ; implicit-def: $vgpr7_vgpr8
	s_delay_alu instid0(VALU_DEP_1)
	v_sub_nc_u32_e32 v9, 0, v4
	s_wait_dscnt 0x0
	v_lshrrev_b32_e32 v14, 16, v13
	v_cmpx_ne_u32_e32 0, v3
	s_wait_alu 0xfffe
	s_xor_b32 s1, exec_lo, s1
	s_cbranch_execz .LBB0_21
; %bb.20:
	v_mov_b32_e32 v4, 0
	s_delay_alu instid0(VALU_DEP_1) | instskip(NEXT) | instid1(VALU_DEP_1)
	v_lshlrev_b64_e32 v[7:8], 2, v[3:4]
	v_add_co_u32 v7, s0, s8, v7
	s_wait_alu 0xf1ff
	s_delay_alu instid0(VALU_DEP_2)
	v_add_co_ci_u32_e64 v8, s0, s9, v8, s0
	global_load_b32 v7, v[7:8], off offset:7004
	ds_load_b32 v8, v9 offset:7072
	s_wait_dscnt 0x0
	v_lshrrev_b32_e32 v10, 16, v8
	v_sub_f16_e32 v11, v13, v8
	v_add_f16_e32 v8, v8, v13
	s_delay_alu instid0(VALU_DEP_3) | instskip(SKIP_1) | instid1(VALU_DEP_4)
	v_add_f16_e32 v12, v10, v14
	v_sub_f16_e32 v10, v14, v10
	v_mul_f16_e32 v14, 0.5, v11
	s_delay_alu instid0(VALU_DEP_3) | instskip(NEXT) | instid1(VALU_DEP_3)
	v_mul_f16_e32 v12, 0.5, v12
	v_mul_f16_e32 v10, 0.5, v10
	s_wait_loadcnt 0x0
	v_lshrrev_b32_e32 v11, 16, v7
	s_delay_alu instid0(VALU_DEP_1) | instskip(NEXT) | instid1(VALU_DEP_3)
	v_mul_f16_e32 v13, v11, v14
	v_fma_f16 v15, v12, v11, v10
	s_delay_alu instid0(VALU_DEP_2) | instskip(SKIP_2) | instid1(VALU_DEP_4)
	v_fma_f16 v16, 0.5, v8, v13
	v_fma_f16 v8, v8, 0.5, -v13
	v_fma_f16 v13, v12, v11, -v10
	v_fma_f16 v10, -v7, v14, v15
	s_delay_alu instid0(VALU_DEP_4) | instskip(NEXT) | instid1(VALU_DEP_4)
	v_fmac_f16_e32 v16, v7, v12
	v_fma_f16 v11, -v7, v12, v8
	s_delay_alu instid0(VALU_DEP_4)
	v_fma_f16 v12, -v7, v14, v13
	v_dual_mov_b32 v8, v4 :: v_dual_mov_b32 v7, v3
	ds_store_b16 v0, v16
                                        ; implicit-def: $vgpr14
                                        ; implicit-def: $vgpr13
.LBB0_21:
	s_wait_alu 0xfffe
	s_and_not1_saveexec_b32 s0, s1
	s_cbranch_execz .LBB0_23
; %bb.22:
	v_dual_mov_b32 v10, 0 :: v_dual_mov_b32 v7, 0
	v_add_f16_e32 v15, v14, v13
	v_sub_f16_e32 v11, v13, v14
	v_mov_b32_e32 v8, 0
	ds_load_u16 v4, v10 offset:3538
	v_mov_b32_e32 v12, 0
	s_wait_dscnt 0x0
	v_xor_b32_e32 v4, 0x8000, v4
	ds_store_b16 v0, v15
	ds_store_b16 v10, v4 offset:3538
.LBB0_23:
	s_wait_alu 0xfffe
	s_or_b32 exec_lo, exec_lo, s0
	v_lshlrev_b64_e32 v[7:8], 2, v[7:8]
	s_add_nc_u64 s[0:1], s[8:9], 0x1b5c
	v_perm_b32 v11, v12, v11, 0x5040100
	s_wait_alu 0xfffe
	s_delay_alu instid0(VALU_DEP_2)
	v_add_co_u32 v7, s0, s0, v7
	s_wait_alu 0xf1ff
	v_add_co_ci_u32_e64 v8, s0, s1, v8, s0
	s_mov_b32 s1, exec_lo
	s_clause 0x4
	global_load_b32 v4, v[7:8], off offset:544
	global_load_b32 v13, v[7:8], off offset:1088
	;; [unrolled: 1-line block ×5, first 2 shown]
	ds_store_b16 v0, v10 offset:2
	ds_store_b32 v9, v11 offset:7072
	ds_load_b32 v10, v0 offset:544
	ds_load_b32 v11, v9 offset:6528
	s_wait_dscnt 0x0
	v_pk_add_f16 v12, v10, v11 neg_lo:[0,1] neg_hi:[0,1]
	v_pk_add_f16 v10, v10, v11
	s_delay_alu instid0(VALU_DEP_1) | instskip(SKIP_1) | instid1(VALU_DEP_2)
	v_bfi_b32 v11, 0xffff, v12, v10
	v_bfi_b32 v10, 0xffff, v10, v12
	v_pk_mul_f16 v11, v11, 0.5 op_sel_hi:[1,0]
	s_delay_alu instid0(VALU_DEP_2) | instskip(SKIP_1) | instid1(VALU_DEP_1)
	v_pk_mul_f16 v10, v10, 0.5 op_sel_hi:[1,0]
	s_wait_loadcnt 0x4
	v_pk_fma_f16 v12, v4, v11, v10 op_sel:[1,0,0]
	v_pk_mul_f16 v17, v4, v11 op_sel_hi:[0,1]
	v_pk_fma_f16 v18, v4, v11, v10 op_sel:[1,0,0] neg_lo:[1,0,0] neg_hi:[1,0,0]
	v_pk_fma_f16 v4, v4, v11, v10 op_sel:[1,0,0] neg_lo:[0,0,1] neg_hi:[0,0,1]
	s_delay_alu instid0(VALU_DEP_3) | instskip(SKIP_1) | instid1(VALU_DEP_4)
	v_pk_add_f16 v10, v12, v17 op_sel:[0,1] op_sel_hi:[1,0]
	v_pk_add_f16 v11, v12, v17 op_sel:[0,1] op_sel_hi:[1,0] neg_lo:[0,1] neg_hi:[0,1]
	v_pk_add_f16 v12, v18, v17 op_sel:[0,1] op_sel_hi:[1,0] neg_lo:[0,1] neg_hi:[0,1]
	s_delay_alu instid0(VALU_DEP_4) | instskip(NEXT) | instid1(VALU_DEP_3)
	v_pk_add_f16 v4, v4, v17 op_sel:[0,1] op_sel_hi:[1,0] neg_lo:[0,1] neg_hi:[0,1]
	v_bfi_b32 v10, 0xffff, v10, v11
	s_delay_alu instid0(VALU_DEP_2)
	v_bfi_b32 v4, 0xffff, v12, v4
	ds_store_b32 v0, v10 offset:544
	ds_store_b32 v9, v4 offset:6528
	ds_load_b32 v4, v0 offset:1088
	ds_load_b32 v10, v9 offset:5984
	s_wait_dscnt 0x0
	v_pk_add_f16 v11, v4, v10 neg_lo:[0,1] neg_hi:[0,1]
	v_pk_add_f16 v4, v4, v10
	s_delay_alu instid0(VALU_DEP_1) | instskip(SKIP_1) | instid1(VALU_DEP_2)
	v_bfi_b32 v10, 0xffff, v11, v4
	v_bfi_b32 v4, 0xffff, v4, v11
	v_pk_mul_f16 v10, v10, 0.5 op_sel_hi:[1,0]
	s_delay_alu instid0(VALU_DEP_2) | instskip(SKIP_1) | instid1(VALU_DEP_2)
	v_pk_mul_f16 v4, v4, 0.5 op_sel_hi:[1,0]
	s_wait_loadcnt 0x3
	v_pk_mul_f16 v12, v13, v10 op_sel_hi:[0,1]
	s_delay_alu instid0(VALU_DEP_2) | instskip(SKIP_2) | instid1(VALU_DEP_3)
	v_pk_fma_f16 v11, v13, v10, v4 op_sel:[1,0,0]
	v_pk_fma_f16 v17, v13, v10, v4 op_sel:[1,0,0] neg_lo:[1,0,0] neg_hi:[1,0,0]
	v_pk_fma_f16 v4, v13, v10, v4 op_sel:[1,0,0] neg_lo:[0,0,1] neg_hi:[0,0,1]
	v_pk_add_f16 v10, v11, v12 op_sel:[0,1] op_sel_hi:[1,0]
	v_pk_add_f16 v11, v11, v12 op_sel:[0,1] op_sel_hi:[1,0] neg_lo:[0,1] neg_hi:[0,1]
	s_delay_alu instid0(VALU_DEP_4) | instskip(NEXT) | instid1(VALU_DEP_4)
	v_pk_add_f16 v13, v17, v12 op_sel:[0,1] op_sel_hi:[1,0] neg_lo:[0,1] neg_hi:[0,1]
	v_pk_add_f16 v4, v4, v12 op_sel:[0,1] op_sel_hi:[1,0] neg_lo:[0,1] neg_hi:[0,1]
	s_delay_alu instid0(VALU_DEP_3) | instskip(NEXT) | instid1(VALU_DEP_2)
	v_bfi_b32 v10, 0xffff, v10, v11
	v_bfi_b32 v4, 0xffff, v13, v4
	ds_store_b32 v0, v10 offset:1088
	ds_store_b32 v9, v4 offset:5984
	ds_load_b32 v4, v0 offset:1632
	ds_load_b32 v10, v9 offset:5440
	s_wait_dscnt 0x0
	v_pk_add_f16 v11, v4, v10 neg_lo:[0,1] neg_hi:[0,1]
	v_pk_add_f16 v4, v4, v10
	s_delay_alu instid0(VALU_DEP_1) | instskip(SKIP_1) | instid1(VALU_DEP_2)
	v_bfi_b32 v10, 0xffff, v11, v4
	v_bfi_b32 v4, 0xffff, v4, v11
	v_pk_mul_f16 v10, v10, 0.5 op_sel_hi:[1,0]
	s_delay_alu instid0(VALU_DEP_2) | instskip(SKIP_1) | instid1(VALU_DEP_2)
	v_pk_mul_f16 v4, v4, 0.5 op_sel_hi:[1,0]
	s_wait_loadcnt 0x2
	v_pk_mul_f16 v12, v14, v10 op_sel_hi:[0,1]
	s_delay_alu instid0(VALU_DEP_2) | instskip(SKIP_2) | instid1(VALU_DEP_3)
	v_pk_fma_f16 v11, v14, v10, v4 op_sel:[1,0,0]
	v_pk_fma_f16 v13, v14, v10, v4 op_sel:[1,0,0] neg_lo:[1,0,0] neg_hi:[1,0,0]
	v_pk_fma_f16 v4, v14, v10, v4 op_sel:[1,0,0] neg_lo:[0,0,1] neg_hi:[0,0,1]
	v_pk_add_f16 v10, v11, v12 op_sel:[0,1] op_sel_hi:[1,0]
	v_pk_add_f16 v11, v11, v12 op_sel:[0,1] op_sel_hi:[1,0] neg_lo:[0,1] neg_hi:[0,1]
	s_delay_alu instid0(VALU_DEP_4) | instskip(NEXT) | instid1(VALU_DEP_4)
	v_pk_add_f16 v13, v13, v12 op_sel:[0,1] op_sel_hi:[1,0] neg_lo:[0,1] neg_hi:[0,1]
	v_pk_add_f16 v4, v4, v12 op_sel:[0,1] op_sel_hi:[1,0] neg_lo:[0,1] neg_hi:[0,1]
	s_delay_alu instid0(VALU_DEP_3) | instskip(NEXT) | instid1(VALU_DEP_2)
	v_bfi_b32 v10, 0xffff, v10, v11
	;; [unrolled: 27-line block ×4, first 2 shown]
	v_bfi_b32 v4, 0xffff, v13, v4
	ds_store_b32 v0, v10 offset:2720
	ds_store_b32 v9, v4 offset:4352
	v_cmpx_gt_u32_e32 0x44, v3
	s_cbranch_execz .LBB0_25
; %bb.24:
	global_load_b32 v4, v[7:8], off offset:3264
	ds_load_b32 v7, v0 offset:3264
	ds_load_b32 v8, v9 offset:3808
	s_wait_dscnt 0x0
	v_pk_add_f16 v10, v7, v8 neg_lo:[0,1] neg_hi:[0,1]
	v_pk_add_f16 v7, v7, v8
	s_delay_alu instid0(VALU_DEP_1) | instskip(SKIP_1) | instid1(VALU_DEP_2)
	v_bfi_b32 v8, 0xffff, v10, v7
	v_bfi_b32 v7, 0xffff, v7, v10
	v_pk_mul_f16 v8, v8, 0.5 op_sel_hi:[1,0]
	s_delay_alu instid0(VALU_DEP_2) | instskip(SKIP_1) | instid1(VALU_DEP_1)
	v_pk_mul_f16 v7, v7, 0.5 op_sel_hi:[1,0]
	s_wait_loadcnt 0x0
	v_pk_fma_f16 v10, v4, v8, v7 op_sel:[1,0,0]
	v_pk_mul_f16 v11, v4, v8 op_sel_hi:[0,1]
	v_pk_fma_f16 v12, v4, v8, v7 op_sel:[1,0,0] neg_lo:[1,0,0] neg_hi:[1,0,0]
	v_pk_fma_f16 v4, v4, v8, v7 op_sel:[1,0,0] neg_lo:[0,0,1] neg_hi:[0,0,1]
	s_delay_alu instid0(VALU_DEP_3) | instskip(SKIP_1) | instid1(VALU_DEP_4)
	v_pk_add_f16 v7, v10, v11 op_sel:[0,1] op_sel_hi:[1,0]
	v_pk_add_f16 v8, v10, v11 op_sel:[0,1] op_sel_hi:[1,0] neg_lo:[0,1] neg_hi:[0,1]
	v_pk_add_f16 v10, v12, v11 op_sel:[0,1] op_sel_hi:[1,0] neg_lo:[0,1] neg_hi:[0,1]
	s_delay_alu instid0(VALU_DEP_4) | instskip(NEXT) | instid1(VALU_DEP_3)
	v_pk_add_f16 v4, v4, v11 op_sel:[0,1] op_sel_hi:[1,0] neg_lo:[0,1] neg_hi:[0,1]
	v_bfi_b32 v7, 0xffff, v7, v8
	s_delay_alu instid0(VALU_DEP_2)
	v_bfi_b32 v4, 0xffff, v10, v4
	ds_store_b32 v0, v7 offset:3264
	ds_store_b32 v9, v4 offset:3808
.LBB0_25:
	s_wait_alu 0xfffe
	s_or_b32 exec_lo, exec_lo, s1
	global_wb scope:SCOPE_SE
	s_wait_dscnt 0x0
	s_barrier_signal -1
	s_barrier_wait -1
	global_inv scope:SCOPE_SE
	s_and_saveexec_b32 s0, vcc_lo
	s_cbranch_execz .LBB0_28
; %bb.26:
	v_mul_lo_u32 v0, s3, v5
	v_mul_lo_u32 v7, s2, v6
	v_mad_co_u64_u32 v[5:6], null, s2, v5, 0
	v_mov_b32_e32 v4, 0
	v_lshl_add_u32 v31, v3, 2, 0
	v_add_nc_u32_e32 v21, 0x2a8, v3
	v_add_nc_u32_e32 v23, 0x330, v3
	;; [unrolled: 1-line block ×4, first 2 shown]
	v_add3_u32 v6, v6, v7, v0
	v_add_nc_u32_e32 v7, 0x88, v3
	v_lshlrev_b64_e32 v[0:1], 2, v[1:2]
	v_lshlrev_b64_e32 v[13:14], 2, v[3:4]
	v_dual_mov_b32 v8, v4 :: v_dual_add_nc_u32 v9, 0x110, v3
	v_lshlrev_b64_e32 v[5:6], 2, v[5:6]
	v_mov_b32_e32 v10, v4
	v_add_nc_u32_e32 v2, 0x400, v31
	v_mov_b32_e32 v18, v4
	ds_load_2addr_b32 v[11:12], v31 offset1:136
	v_mov_b32_e32 v22, v4
	v_add_co_u32 v15, vcc_lo, s6, v5
	s_wait_alu 0xfffd
	v_add_co_ci_u32_e32 v16, vcc_lo, s7, v6, vcc_lo
	v_lshlrev_b64_e32 v[5:6], 2, v[7:8]
	s_delay_alu instid0(VALU_DEP_3) | instskip(SKIP_1) | instid1(VALU_DEP_3)
	v_add_co_u32 v0, vcc_lo, v15, v0
	s_wait_alu 0xfffd
	v_add_co_ci_u32_e32 v1, vcc_lo, v16, v1, vcc_lo
	v_lshlrev_b64_e32 v[7:8], 2, v[9:10]
	s_delay_alu instid0(VALU_DEP_3) | instskip(SKIP_1) | instid1(VALU_DEP_3)
	v_add_co_u32 v9, vcc_lo, v0, v13
	s_wait_alu 0xfffd
	v_add_co_ci_u32_e32 v10, vcc_lo, v1, v14, vcc_lo
	v_dual_mov_b32 v14, v4 :: v_dual_add_nc_u32 v13, 0x198, v3
	v_add_nc_u32_e32 v17, 0x220, v3
	ds_load_2addr_b32 v[15:16], v2 offset0:16 offset1:152
	v_add_nc_u32_e32 v2, 0x800, v31
	v_add_co_u32 v5, vcc_lo, v0, v5
	v_lshlrev_b64_e32 v[13:14], 2, v[13:14]
	s_wait_alu 0xfffd
	v_add_co_ci_u32_e32 v6, vcc_lo, v1, v6, vcc_lo
	ds_load_2addr_b32 v[19:20], v2 offset0:32 offset1:168
	v_add_nc_u32_e32 v2, 0xc00, v31
	v_add_co_u32 v7, vcc_lo, v0, v7
	v_lshlrev_b64_e32 v[17:18], 2, v[17:18]
	v_mov_b32_e32 v24, v4
	s_wait_alu 0xfffd
	v_add_co_ci_u32_e32 v8, vcc_lo, v1, v8, vcc_lo
	v_add_co_u32 v13, vcc_lo, v0, v13
	v_lshlrev_b64_e32 v[21:22], 2, v[21:22]
	ds_load_2addr_b32 v[27:28], v2 offset0:48 offset1:184
	v_mov_b32_e32 v26, v4
	s_wait_alu 0xfffd
	v_add_co_ci_u32_e32 v14, vcc_lo, v1, v14, vcc_lo
	v_add_co_u32 v17, vcc_lo, v0, v17
	v_lshlrev_b64_e32 v[23:24], 2, v[23:24]
	s_wait_alu 0xfffd
	v_add_co_ci_u32_e32 v18, vcc_lo, v1, v18, vcc_lo
	v_add_co_u32 v21, vcc_lo, v0, v21
	v_lshlrev_b64_e32 v[25:26], 2, v[25:26]
	s_wait_alu 0xfffd
	v_add_co_ci_u32_e32 v22, vcc_lo, v1, v22, vcc_lo
	v_add_co_u32 v23, vcc_lo, v0, v23
	s_wait_alu 0xfffd
	v_add_co_ci_u32_e32 v24, vcc_lo, v1, v24, vcc_lo
	v_mov_b32_e32 v30, v4
	v_add_co_u32 v25, vcc_lo, v0, v25
	s_wait_alu 0xfffd
	v_add_co_ci_u32_e32 v26, vcc_lo, v1, v26, vcc_lo
	v_add_nc_u32_e32 v2, 0x1000, v31
	s_wait_dscnt 0x3
	s_clause 0x1
	global_store_b32 v[9:10], v11, off
	global_store_b32 v[5:6], v12, off
	s_wait_dscnt 0x2
	s_clause 0x1
	global_store_b32 v[7:8], v15, off
	global_store_b32 v[13:14], v16, off
	;; [unrolled: 4-line block ×4, first 2 shown]
	v_dual_mov_b32 v8, v4 :: v_dual_add_nc_u32 v7, 0x4c8, v3
	v_add_nc_u32_e32 v11, 0x550, v3
	v_lshlrev_b64_e32 v[29:30], 2, v[29:30]
	v_dual_mov_b32 v12, v4 :: v_dual_add_nc_u32 v13, 0x5d8, v3
	ds_load_2addr_b32 v[5:6], v2 offset0:64 offset1:200
	v_lshlrev_b64_e32 v[7:8], 2, v[7:8]
	v_add_nc_u32_e32 v2, 0x1400, v31
	v_dual_mov_b32 v14, v4 :: v_dual_add_nc_u32 v17, 0x660, v3
	v_add_co_u32 v9, vcc_lo, v0, v29
	v_lshlrev_b64_e32 v[11:12], 2, v[11:12]
	v_mov_b32_e32 v18, v4
	s_wait_alu 0xfffd
	v_add_co_ci_u32_e32 v10, vcc_lo, v1, v30, vcc_lo
	ds_load_2addr_b32 v[15:16], v2 offset0:80 offset1:216
	v_add_co_u32 v7, vcc_lo, v0, v7
	v_lshlrev_b64_e32 v[13:14], 2, v[13:14]
	ds_load_b32 v2, v31 offset:6528
	s_wait_alu 0xfffd
	v_add_co_ci_u32_e32 v8, vcc_lo, v1, v8, vcc_lo
	v_add_co_u32 v11, vcc_lo, v0, v11
	v_lshlrev_b64_e32 v[17:18], 2, v[17:18]
	s_wait_alu 0xfffd
	v_add_co_ci_u32_e32 v12, vcc_lo, v1, v12, vcc_lo
	v_add_co_u32 v13, vcc_lo, v0, v13
	s_wait_alu 0xfffd
	v_add_co_ci_u32_e32 v14, vcc_lo, v1, v14, vcc_lo
	v_add_co_u32 v17, vcc_lo, v0, v17
	s_wait_alu 0xfffd
	v_add_co_ci_u32_e32 v18, vcc_lo, v1, v18, vcc_lo
	v_cmp_eq_u32_e32 vcc_lo, 0x87, v3
	s_wait_dscnt 0x2
	s_clause 0x1
	global_store_b32 v[9:10], v5, off
	global_store_b32 v[7:8], v6, off
	s_wait_dscnt 0x1
	s_clause 0x1
	global_store_b32 v[11:12], v15, off
	global_store_b32 v[13:14], v16, off
	s_wait_dscnt 0x0
	global_store_b32 v[17:18], v2, off
	s_and_b32 exec_lo, exec_lo, vcc_lo
	s_cbranch_execz .LBB0_28
; %bb.27:
	ds_load_b32 v2, v4 offset:7072
	s_wait_dscnt 0x0
	global_store_b32 v[0:1], v2, off offset:7072
.LBB0_28:
	s_nop 0
	s_sendmsg sendmsg(MSG_DEALLOC_VGPRS)
	s_endpgm
	.section	.rodata,"a",@progbits
	.p2align	6, 0x0
	.amdhsa_kernel fft_rtc_back_len1768_factors_17_13_8_wgs_136_tpt_136_halfLds_half_op_CI_CI_unitstride_sbrr_R2C_dirReg
		.amdhsa_group_segment_fixed_size 0
		.amdhsa_private_segment_fixed_size 0
		.amdhsa_kernarg_size 104
		.amdhsa_user_sgpr_count 2
		.amdhsa_user_sgpr_dispatch_ptr 0
		.amdhsa_user_sgpr_queue_ptr 0
		.amdhsa_user_sgpr_kernarg_segment_ptr 1
		.amdhsa_user_sgpr_dispatch_id 0
		.amdhsa_user_sgpr_private_segment_size 0
		.amdhsa_wavefront_size32 1
		.amdhsa_uses_dynamic_stack 0
		.amdhsa_enable_private_segment 0
		.amdhsa_system_sgpr_workgroup_id_x 1
		.amdhsa_system_sgpr_workgroup_id_y 0
		.amdhsa_system_sgpr_workgroup_id_z 0
		.amdhsa_system_sgpr_workgroup_info 0
		.amdhsa_system_vgpr_workitem_id 0
		.amdhsa_next_free_vgpr 162
		.amdhsa_next_free_sgpr 39
		.amdhsa_reserve_vcc 1
		.amdhsa_float_round_mode_32 0
		.amdhsa_float_round_mode_16_64 0
		.amdhsa_float_denorm_mode_32 3
		.amdhsa_float_denorm_mode_16_64 3
		.amdhsa_fp16_overflow 0
		.amdhsa_workgroup_processor_mode 1
		.amdhsa_memory_ordered 1
		.amdhsa_forward_progress 0
		.amdhsa_round_robin_scheduling 0
		.amdhsa_exception_fp_ieee_invalid_op 0
		.amdhsa_exception_fp_denorm_src 0
		.amdhsa_exception_fp_ieee_div_zero 0
		.amdhsa_exception_fp_ieee_overflow 0
		.amdhsa_exception_fp_ieee_underflow 0
		.amdhsa_exception_fp_ieee_inexact 0
		.amdhsa_exception_int_div_zero 0
	.end_amdhsa_kernel
	.text
.Lfunc_end0:
	.size	fft_rtc_back_len1768_factors_17_13_8_wgs_136_tpt_136_halfLds_half_op_CI_CI_unitstride_sbrr_R2C_dirReg, .Lfunc_end0-fft_rtc_back_len1768_factors_17_13_8_wgs_136_tpt_136_halfLds_half_op_CI_CI_unitstride_sbrr_R2C_dirReg
                                        ; -- End function
	.section	.AMDGPU.csdata,"",@progbits
; Kernel info:
; codeLenInByte = 15740
; NumSgprs: 41
; NumVgprs: 162
; ScratchSize: 0
; MemoryBound: 0
; FloatMode: 240
; IeeeMode: 1
; LDSByteSize: 0 bytes/workgroup (compile time only)
; SGPRBlocks: 5
; VGPRBlocks: 20
; NumSGPRsForWavesPerEU: 41
; NumVGPRsForWavesPerEU: 162
; Occupancy: 9
; WaveLimiterHint : 1
; COMPUTE_PGM_RSRC2:SCRATCH_EN: 0
; COMPUTE_PGM_RSRC2:USER_SGPR: 2
; COMPUTE_PGM_RSRC2:TRAP_HANDLER: 0
; COMPUTE_PGM_RSRC2:TGID_X_EN: 1
; COMPUTE_PGM_RSRC2:TGID_Y_EN: 0
; COMPUTE_PGM_RSRC2:TGID_Z_EN: 0
; COMPUTE_PGM_RSRC2:TIDIG_COMP_CNT: 0
	.text
	.p2alignl 7, 3214868480
	.fill 96, 4, 3214868480
	.type	__hip_cuid_d49f7a04393aa1cf,@object ; @__hip_cuid_d49f7a04393aa1cf
	.section	.bss,"aw",@nobits
	.globl	__hip_cuid_d49f7a04393aa1cf
__hip_cuid_d49f7a04393aa1cf:
	.byte	0                               ; 0x0
	.size	__hip_cuid_d49f7a04393aa1cf, 1

	.ident	"AMD clang version 19.0.0git (https://github.com/RadeonOpenCompute/llvm-project roc-6.4.0 25133 c7fe45cf4b819c5991fe208aaa96edf142730f1d)"
	.section	".note.GNU-stack","",@progbits
	.addrsig
	.addrsig_sym __hip_cuid_d49f7a04393aa1cf
	.amdgpu_metadata
---
amdhsa.kernels:
  - .args:
      - .actual_access:  read_only
        .address_space:  global
        .offset:         0
        .size:           8
        .value_kind:     global_buffer
      - .offset:         8
        .size:           8
        .value_kind:     by_value
      - .actual_access:  read_only
        .address_space:  global
        .offset:         16
        .size:           8
        .value_kind:     global_buffer
      - .actual_access:  read_only
        .address_space:  global
        .offset:         24
        .size:           8
        .value_kind:     global_buffer
      - .actual_access:  read_only
        .address_space:  global
        .offset:         32
        .size:           8
        .value_kind:     global_buffer
      - .offset:         40
        .size:           8
        .value_kind:     by_value
      - .actual_access:  read_only
        .address_space:  global
        .offset:         48
        .size:           8
        .value_kind:     global_buffer
      - .actual_access:  read_only
        .address_space:  global
        .offset:         56
        .size:           8
        .value_kind:     global_buffer
      - .offset:         64
        .size:           4
        .value_kind:     by_value
      - .actual_access:  read_only
        .address_space:  global
        .offset:         72
        .size:           8
        .value_kind:     global_buffer
      - .actual_access:  read_only
        .address_space:  global
        .offset:         80
        .size:           8
        .value_kind:     global_buffer
      - .actual_access:  read_only
        .address_space:  global
        .offset:         88
        .size:           8
        .value_kind:     global_buffer
      - .actual_access:  write_only
        .address_space:  global
        .offset:         96
        .size:           8
        .value_kind:     global_buffer
    .group_segment_fixed_size: 0
    .kernarg_segment_align: 8
    .kernarg_segment_size: 104
    .language:       OpenCL C
    .language_version:
      - 2
      - 0
    .max_flat_workgroup_size: 136
    .name:           fft_rtc_back_len1768_factors_17_13_8_wgs_136_tpt_136_halfLds_half_op_CI_CI_unitstride_sbrr_R2C_dirReg
    .private_segment_fixed_size: 0
    .sgpr_count:     41
    .sgpr_spill_count: 0
    .symbol:         fft_rtc_back_len1768_factors_17_13_8_wgs_136_tpt_136_halfLds_half_op_CI_CI_unitstride_sbrr_R2C_dirReg.kd
    .uniform_work_group_size: 1
    .uses_dynamic_stack: false
    .vgpr_count:     162
    .vgpr_spill_count: 0
    .wavefront_size: 32
    .workgroup_processor_mode: 1
amdhsa.target:   amdgcn-amd-amdhsa--gfx1201
amdhsa.version:
  - 1
  - 2
...

	.end_amdgpu_metadata
